;; amdgpu-corpus repo=LLNL/RAJAPerf kind=compiled arch=gfx1100 opt=O3
	.text
	.amdgcn_target "amdgcn-amd-amdhsa--gfx1100"
	.amdhsa_code_object_version 6
	.section	.text._ZN8rajaperf9polybench16poly_jacobi_2D_1ILm32ELm8EEEvPdS2_l,"axG",@progbits,_ZN8rajaperf9polybench16poly_jacobi_2D_1ILm32ELm8EEEvPdS2_l,comdat
	.protected	_ZN8rajaperf9polybench16poly_jacobi_2D_1ILm32ELm8EEEvPdS2_l ; -- Begin function _ZN8rajaperf9polybench16poly_jacobi_2D_1ILm32ELm8EEEvPdS2_l
	.globl	_ZN8rajaperf9polybench16poly_jacobi_2D_1ILm32ELm8EEEvPdS2_l
	.p2align	8
	.type	_ZN8rajaperf9polybench16poly_jacobi_2D_1ILm32ELm8EEEvPdS2_l,@function
_ZN8rajaperf9polybench16poly_jacobi_2D_1ILm32ELm8EEEvPdS2_l: ; @_ZN8rajaperf9polybench16poly_jacobi_2D_1ILm32ELm8EEEvPdS2_l
; %bb.0:
	s_load_b64 s[4:5], s[0:1], 0x10
	v_bfe_u32 v1, v0, 10, 10
	v_and_b32_e32 v2, 0x3ff, v0
	s_mov_b32 s2, s15
	s_mov_b32 s3, 0
	s_delay_alu instid0(VALU_DEP_2) | instskip(NEXT) | instid1(VALU_DEP_2)
	v_add_nc_u32_e32 v0, 1, v1
	v_add_nc_u32_e32 v3, 1, v2
	s_mov_b32 s15, s3
	s_lshl_b64 s[2:3], s[2:3], 3
	s_lshl_b64 s[6:7], s[14:15], 5
	v_add_co_u32 v0, s2, s2, v0
	s_delay_alu instid0(VALU_DEP_1) | instskip(SKIP_1) | instid1(VALU_DEP_1)
	v_add_co_ci_u32_e64 v1, null, s3, 0, s2
	v_add_co_u32 v3, s2, s6, v3
	v_add_co_ci_u32_e64 v4, null, s7, 0, s2
	s_waitcnt lgkmcnt(0)
	s_add_u32 s2, s4, -1
	s_addc_u32 s3, s5, -1
	s_delay_alu instid0(SALU_CYCLE_1) | instskip(SKIP_1) | instid1(VALU_DEP_1)
	v_cmp_gt_i64_e32 vcc_lo, s[2:3], v[0:1]
	v_cmp_gt_i64_e64 s2, s[2:3], v[3:4]
	s_and_b32 s2, vcc_lo, s2
	s_delay_alu instid0(SALU_CYCLE_1)
	s_and_saveexec_b32 s3, s2
	s_cbranch_execz .LBB0_2
; %bb.1:
	s_load_b128 s[0:3], s[0:1], 0x0
	v_mul_lo_u32 v3, v1, s4
	v_mul_lo_u32 v6, v0, s5
	v_mad_u64_u32 v[4:5], null, v0, s4, 0
	v_add_co_u32 v0, s6, s6, v2
	s_delay_alu instid0(VALU_DEP_1) | instskip(NEXT) | instid1(VALU_DEP_3)
	v_add_co_ci_u32_e64 v1, null, s7, 0, s6
	v_add3_u32 v5, v5, v6, v3
	s_delay_alu instid0(VALU_DEP_2) | instskip(NEXT) | instid1(VALU_DEP_2)
	v_lshlrev_b64 v[6:7], 3, v[0:1]
	v_lshlrev_b64 v[8:9], 3, v[4:5]
	s_waitcnt lgkmcnt(0)
	s_delay_alu instid0(VALU_DEP_2) | instskip(NEXT) | instid1(VALU_DEP_3)
	v_add_co_u32 v14, vcc_lo, s0, v6
	v_add_co_ci_u32_e32 v15, vcc_lo, s1, v7, vcc_lo
	s_lshl_b64 s[0:1], s[4:5], 3
	s_delay_alu instid0(VALU_DEP_2) | instskip(NEXT) | instid1(VALU_DEP_2)
	v_add_co_u32 v10, vcc_lo, v14, v8
	v_add_co_ci_u32_e32 v11, vcc_lo, v15, v9, vcc_lo
	s_clause 0x1
	global_load_b128 v[0:3], v[10:11], off
	global_load_b64 v[12:13], v[10:11], off offset:16
	v_add_co_u32 v10, vcc_lo, v10, s0
	v_add_co_ci_u32_e32 v11, vcc_lo, s1, v11, vcc_lo
	v_add_co_u32 v4, vcc_lo, v4, s4
	v_add_co_ci_u32_e32 v5, vcc_lo, s5, v5, vcc_lo
	global_load_b64 v[10:11], v[10:11], off offset:8
	s_lshl_b64 s[0:1], s[4:5], 1
	s_delay_alu instid0(SALU_CYCLE_1) | instskip(SKIP_3) | instid1(VALU_DEP_1)
	v_sub_co_u32 v4, vcc_lo, v4, s0
	v_subrev_co_ci_u32_e32 v5, vcc_lo, s1, v5, vcc_lo
	s_mov_b32 s0, 0x9999999a
	s_mov_b32 s1, 0x3fc99999
	v_lshlrev_b64 v[4:5], 3, v[4:5]
	s_delay_alu instid0(VALU_DEP_1) | instskip(NEXT) | instid1(VALU_DEP_2)
	v_add_co_u32 v4, vcc_lo, v14, v4
	v_add_co_ci_u32_e32 v5, vcc_lo, v15, v5, vcc_lo
	global_load_b64 v[4:5], v[4:5], off offset:8
	s_waitcnt vmcnt(3)
	v_add_f64 v[0:1], v[2:3], v[0:1]
	v_add_co_u32 v2, vcc_lo, s2, v8
	v_add_co_ci_u32_e32 v3, vcc_lo, s3, v9, vcc_lo
	s_delay_alu instid0(VALU_DEP_2) | instskip(NEXT) | instid1(VALU_DEP_2)
	v_add_co_u32 v2, vcc_lo, v2, v6
	v_add_co_ci_u32_e32 v3, vcc_lo, v3, v7, vcc_lo
	s_waitcnt vmcnt(2)
	v_add_f64 v[0:1], v[0:1], v[12:13]
	s_waitcnt vmcnt(1)
	s_delay_alu instid0(VALU_DEP_1) | instskip(SKIP_1) | instid1(VALU_DEP_1)
	v_add_f64 v[0:1], v[0:1], v[10:11]
	s_waitcnt vmcnt(0)
	v_add_f64 v[0:1], v[0:1], v[4:5]
	s_delay_alu instid0(VALU_DEP_1)
	v_mul_f64 v[0:1], v[0:1], s[0:1]
	global_store_b64 v[2:3], v[0:1], off offset:8
.LBB0_2:
	s_nop 0
	s_sendmsg sendmsg(MSG_DEALLOC_VGPRS)
	s_endpgm
	.section	.rodata,"a",@progbits
	.p2align	6, 0x0
	.amdhsa_kernel _ZN8rajaperf9polybench16poly_jacobi_2D_1ILm32ELm8EEEvPdS2_l
		.amdhsa_group_segment_fixed_size 0
		.amdhsa_private_segment_fixed_size 0
		.amdhsa_kernarg_size 24
		.amdhsa_user_sgpr_count 14
		.amdhsa_user_sgpr_dispatch_ptr 0
		.amdhsa_user_sgpr_queue_ptr 0
		.amdhsa_user_sgpr_kernarg_segment_ptr 1
		.amdhsa_user_sgpr_dispatch_id 0
		.amdhsa_user_sgpr_private_segment_size 0
		.amdhsa_wavefront_size32 1
		.amdhsa_uses_dynamic_stack 0
		.amdhsa_enable_private_segment 0
		.amdhsa_system_sgpr_workgroup_id_x 1
		.amdhsa_system_sgpr_workgroup_id_y 1
		.amdhsa_system_sgpr_workgroup_id_z 0
		.amdhsa_system_sgpr_workgroup_info 0
		.amdhsa_system_vgpr_workitem_id 1
		.amdhsa_next_free_vgpr 16
		.amdhsa_next_free_sgpr 16
		.amdhsa_reserve_vcc 1
		.amdhsa_float_round_mode_32 0
		.amdhsa_float_round_mode_16_64 0
		.amdhsa_float_denorm_mode_32 3
		.amdhsa_float_denorm_mode_16_64 3
		.amdhsa_dx10_clamp 1
		.amdhsa_ieee_mode 1
		.amdhsa_fp16_overflow 0
		.amdhsa_workgroup_processor_mode 1
		.amdhsa_memory_ordered 1
		.amdhsa_forward_progress 0
		.amdhsa_shared_vgpr_count 0
		.amdhsa_exception_fp_ieee_invalid_op 0
		.amdhsa_exception_fp_denorm_src 0
		.amdhsa_exception_fp_ieee_div_zero 0
		.amdhsa_exception_fp_ieee_overflow 0
		.amdhsa_exception_fp_ieee_underflow 0
		.amdhsa_exception_fp_ieee_inexact 0
		.amdhsa_exception_int_div_zero 0
	.end_amdhsa_kernel
	.section	.text._ZN8rajaperf9polybench16poly_jacobi_2D_1ILm32ELm8EEEvPdS2_l,"axG",@progbits,_ZN8rajaperf9polybench16poly_jacobi_2D_1ILm32ELm8EEEvPdS2_l,comdat
.Lfunc_end0:
	.size	_ZN8rajaperf9polybench16poly_jacobi_2D_1ILm32ELm8EEEvPdS2_l, .Lfunc_end0-_ZN8rajaperf9polybench16poly_jacobi_2D_1ILm32ELm8EEEvPdS2_l
                                        ; -- End function
	.section	.AMDGPU.csdata,"",@progbits
; Kernel info:
; codeLenInByte = 488
; NumSgprs: 18
; NumVgprs: 16
; ScratchSize: 0
; MemoryBound: 0
; FloatMode: 240
; IeeeMode: 1
; LDSByteSize: 0 bytes/workgroup (compile time only)
; SGPRBlocks: 2
; VGPRBlocks: 1
; NumSGPRsForWavesPerEU: 18
; NumVGPRsForWavesPerEU: 16
; Occupancy: 16
; WaveLimiterHint : 0
; COMPUTE_PGM_RSRC2:SCRATCH_EN: 0
; COMPUTE_PGM_RSRC2:USER_SGPR: 14
; COMPUTE_PGM_RSRC2:TRAP_HANDLER: 0
; COMPUTE_PGM_RSRC2:TGID_X_EN: 1
; COMPUTE_PGM_RSRC2:TGID_Y_EN: 1
; COMPUTE_PGM_RSRC2:TGID_Z_EN: 0
; COMPUTE_PGM_RSRC2:TIDIG_COMP_CNT: 1
	.section	.text._ZN8rajaperf9polybench16poly_jacobi_2D_2ILm32ELm8EEEvPdS2_l,"axG",@progbits,_ZN8rajaperf9polybench16poly_jacobi_2D_2ILm32ELm8EEEvPdS2_l,comdat
	.protected	_ZN8rajaperf9polybench16poly_jacobi_2D_2ILm32ELm8EEEvPdS2_l ; -- Begin function _ZN8rajaperf9polybench16poly_jacobi_2D_2ILm32ELm8EEEvPdS2_l
	.globl	_ZN8rajaperf9polybench16poly_jacobi_2D_2ILm32ELm8EEEvPdS2_l
	.p2align	8
	.type	_ZN8rajaperf9polybench16poly_jacobi_2D_2ILm32ELm8EEEvPdS2_l,@function
_ZN8rajaperf9polybench16poly_jacobi_2D_2ILm32ELm8EEEvPdS2_l: ; @_ZN8rajaperf9polybench16poly_jacobi_2D_2ILm32ELm8EEEvPdS2_l
; %bb.0:
	s_load_b64 s[4:5], s[0:1], 0x10
	v_bfe_u32 v1, v0, 10, 10
	v_and_b32_e32 v2, 0x3ff, v0
	s_mov_b32 s2, s15
	s_mov_b32 s3, 0
	s_delay_alu instid0(VALU_DEP_2) | instskip(NEXT) | instid1(VALU_DEP_2)
	v_add_nc_u32_e32 v0, 1, v1
	v_add_nc_u32_e32 v3, 1, v2
	s_mov_b32 s15, s3
	s_lshl_b64 s[2:3], s[2:3], 3
	s_lshl_b64 s[6:7], s[14:15], 5
	v_add_co_u32 v0, s2, s2, v0
	s_delay_alu instid0(VALU_DEP_1) | instskip(SKIP_1) | instid1(VALU_DEP_1)
	v_add_co_ci_u32_e64 v1, null, s3, 0, s2
	v_add_co_u32 v3, s2, s6, v3
	v_add_co_ci_u32_e64 v4, null, s7, 0, s2
	s_waitcnt lgkmcnt(0)
	s_add_u32 s2, s4, -1
	s_addc_u32 s3, s5, -1
	s_delay_alu instid0(SALU_CYCLE_1) | instskip(SKIP_1) | instid1(VALU_DEP_1)
	v_cmp_gt_i64_e32 vcc_lo, s[2:3], v[0:1]
	v_cmp_gt_i64_e64 s2, s[2:3], v[3:4]
	s_and_b32 s2, vcc_lo, s2
	s_delay_alu instid0(SALU_CYCLE_1)
	s_and_saveexec_b32 s3, s2
	s_cbranch_execz .LBB1_2
; %bb.1:
	s_load_b128 s[0:3], s[0:1], 0x0
	v_mul_lo_u32 v3, v1, s4
	v_mul_lo_u32 v6, v0, s5
	v_mad_u64_u32 v[4:5], null, v0, s4, 0
	v_add_co_u32 v0, s6, s6, v2
	s_delay_alu instid0(VALU_DEP_1) | instskip(NEXT) | instid1(VALU_DEP_3)
	v_add_co_ci_u32_e64 v1, null, s7, 0, s6
	v_add3_u32 v5, v5, v6, v3
	s_delay_alu instid0(VALU_DEP_2) | instskip(NEXT) | instid1(VALU_DEP_2)
	v_lshlrev_b64 v[6:7], 3, v[0:1]
	v_lshlrev_b64 v[8:9], 3, v[4:5]
	s_waitcnt lgkmcnt(0)
	s_delay_alu instid0(VALU_DEP_2) | instskip(NEXT) | instid1(VALU_DEP_3)
	v_add_co_u32 v14, vcc_lo, s2, v6
	v_add_co_ci_u32_e32 v15, vcc_lo, s3, v7, vcc_lo
	s_lshl_b64 s[2:3], s[4:5], 3
	s_delay_alu instid0(VALU_DEP_2) | instskip(NEXT) | instid1(VALU_DEP_2)
	v_add_co_u32 v10, vcc_lo, v14, v8
	v_add_co_ci_u32_e32 v11, vcc_lo, v15, v9, vcc_lo
	s_clause 0x1
	global_load_b128 v[0:3], v[10:11], off
	global_load_b64 v[12:13], v[10:11], off offset:16
	v_add_co_u32 v10, vcc_lo, v10, s2
	v_add_co_ci_u32_e32 v11, vcc_lo, s3, v11, vcc_lo
	v_add_co_u32 v4, vcc_lo, v4, s4
	v_add_co_ci_u32_e32 v5, vcc_lo, s5, v5, vcc_lo
	global_load_b64 v[10:11], v[10:11], off offset:8
	s_lshl_b64 s[2:3], s[4:5], 1
	s_delay_alu instid0(SALU_CYCLE_1) | instskip(SKIP_3) | instid1(VALU_DEP_1)
	v_sub_co_u32 v4, vcc_lo, v4, s2
	v_subrev_co_ci_u32_e32 v5, vcc_lo, s3, v5, vcc_lo
	s_mov_b32 s2, 0x9999999a
	s_mov_b32 s3, 0x3fc99999
	v_lshlrev_b64 v[4:5], 3, v[4:5]
	s_delay_alu instid0(VALU_DEP_1) | instskip(NEXT) | instid1(VALU_DEP_2)
	v_add_co_u32 v4, vcc_lo, v14, v4
	v_add_co_ci_u32_e32 v5, vcc_lo, v15, v5, vcc_lo
	global_load_b64 v[4:5], v[4:5], off offset:8
	s_waitcnt vmcnt(3)
	v_add_f64 v[0:1], v[2:3], v[0:1]
	v_add_co_u32 v2, vcc_lo, s0, v8
	v_add_co_ci_u32_e32 v3, vcc_lo, s1, v9, vcc_lo
	s_delay_alu instid0(VALU_DEP_2) | instskip(NEXT) | instid1(VALU_DEP_2)
	v_add_co_u32 v2, vcc_lo, v2, v6
	v_add_co_ci_u32_e32 v3, vcc_lo, v3, v7, vcc_lo
	s_waitcnt vmcnt(2)
	v_add_f64 v[0:1], v[0:1], v[12:13]
	s_waitcnt vmcnt(1)
	s_delay_alu instid0(VALU_DEP_1) | instskip(SKIP_1) | instid1(VALU_DEP_1)
	v_add_f64 v[0:1], v[0:1], v[10:11]
	s_waitcnt vmcnt(0)
	v_add_f64 v[0:1], v[0:1], v[4:5]
	s_delay_alu instid0(VALU_DEP_1)
	v_mul_f64 v[0:1], v[0:1], s[2:3]
	global_store_b64 v[2:3], v[0:1], off offset:8
.LBB1_2:
	s_nop 0
	s_sendmsg sendmsg(MSG_DEALLOC_VGPRS)
	s_endpgm
	.section	.rodata,"a",@progbits
	.p2align	6, 0x0
	.amdhsa_kernel _ZN8rajaperf9polybench16poly_jacobi_2D_2ILm32ELm8EEEvPdS2_l
		.amdhsa_group_segment_fixed_size 0
		.amdhsa_private_segment_fixed_size 0
		.amdhsa_kernarg_size 24
		.amdhsa_user_sgpr_count 14
		.amdhsa_user_sgpr_dispatch_ptr 0
		.amdhsa_user_sgpr_queue_ptr 0
		.amdhsa_user_sgpr_kernarg_segment_ptr 1
		.amdhsa_user_sgpr_dispatch_id 0
		.amdhsa_user_sgpr_private_segment_size 0
		.amdhsa_wavefront_size32 1
		.amdhsa_uses_dynamic_stack 0
		.amdhsa_enable_private_segment 0
		.amdhsa_system_sgpr_workgroup_id_x 1
		.amdhsa_system_sgpr_workgroup_id_y 1
		.amdhsa_system_sgpr_workgroup_id_z 0
		.amdhsa_system_sgpr_workgroup_info 0
		.amdhsa_system_vgpr_workitem_id 1
		.amdhsa_next_free_vgpr 16
		.amdhsa_next_free_sgpr 16
		.amdhsa_reserve_vcc 1
		.amdhsa_float_round_mode_32 0
		.amdhsa_float_round_mode_16_64 0
		.amdhsa_float_denorm_mode_32 3
		.amdhsa_float_denorm_mode_16_64 3
		.amdhsa_dx10_clamp 1
		.amdhsa_ieee_mode 1
		.amdhsa_fp16_overflow 0
		.amdhsa_workgroup_processor_mode 1
		.amdhsa_memory_ordered 1
		.amdhsa_forward_progress 0
		.amdhsa_shared_vgpr_count 0
		.amdhsa_exception_fp_ieee_invalid_op 0
		.amdhsa_exception_fp_denorm_src 0
		.amdhsa_exception_fp_ieee_div_zero 0
		.amdhsa_exception_fp_ieee_overflow 0
		.amdhsa_exception_fp_ieee_underflow 0
		.amdhsa_exception_fp_ieee_inexact 0
		.amdhsa_exception_int_div_zero 0
	.end_amdhsa_kernel
	.section	.text._ZN8rajaperf9polybench16poly_jacobi_2D_2ILm32ELm8EEEvPdS2_l,"axG",@progbits,_ZN8rajaperf9polybench16poly_jacobi_2D_2ILm32ELm8EEEvPdS2_l,comdat
.Lfunc_end1:
	.size	_ZN8rajaperf9polybench16poly_jacobi_2D_2ILm32ELm8EEEvPdS2_l, .Lfunc_end1-_ZN8rajaperf9polybench16poly_jacobi_2D_2ILm32ELm8EEEvPdS2_l
                                        ; -- End function
	.section	.AMDGPU.csdata,"",@progbits
; Kernel info:
; codeLenInByte = 488
; NumSgprs: 18
; NumVgprs: 16
; ScratchSize: 0
; MemoryBound: 0
; FloatMode: 240
; IeeeMode: 1
; LDSByteSize: 0 bytes/workgroup (compile time only)
; SGPRBlocks: 2
; VGPRBlocks: 1
; NumSGPRsForWavesPerEU: 18
; NumVGPRsForWavesPerEU: 16
; Occupancy: 16
; WaveLimiterHint : 0
; COMPUTE_PGM_RSRC2:SCRATCH_EN: 0
; COMPUTE_PGM_RSRC2:USER_SGPR: 14
; COMPUTE_PGM_RSRC2:TRAP_HANDLER: 0
; COMPUTE_PGM_RSRC2:TGID_X_EN: 1
; COMPUTE_PGM_RSRC2:TGID_Y_EN: 1
; COMPUTE_PGM_RSRC2:TGID_Z_EN: 0
; COMPUTE_PGM_RSRC2:TIDIG_COMP_CNT: 1
	.section	.text._ZN8rajaperf9polybench18poly_jacobi_2D_lamILm32ELm8EZNS0_19POLYBENCH_JACOBI_2D17runHipVariantImplILm256EEEvNS_9VariantIDEEUlllE_EEvlT1_,"axG",@progbits,_ZN8rajaperf9polybench18poly_jacobi_2D_lamILm32ELm8EZNS0_19POLYBENCH_JACOBI_2D17runHipVariantImplILm256EEEvNS_9VariantIDEEUlllE_EEvlT1_,comdat
	.protected	_ZN8rajaperf9polybench18poly_jacobi_2D_lamILm32ELm8EZNS0_19POLYBENCH_JACOBI_2D17runHipVariantImplILm256EEEvNS_9VariantIDEEUlllE_EEvlT1_ ; -- Begin function _ZN8rajaperf9polybench18poly_jacobi_2D_lamILm32ELm8EZNS0_19POLYBENCH_JACOBI_2D17runHipVariantImplILm256EEEvNS_9VariantIDEEUlllE_EEvlT1_
	.globl	_ZN8rajaperf9polybench18poly_jacobi_2D_lamILm32ELm8EZNS0_19POLYBENCH_JACOBI_2D17runHipVariantImplILm256EEEvNS_9VariantIDEEUlllE_EEvlT1_
	.p2align	8
	.type	_ZN8rajaperf9polybench18poly_jacobi_2D_lamILm32ELm8EZNS0_19POLYBENCH_JACOBI_2D17runHipVariantImplILm256EEEvNS_9VariantIDEEUlllE_EEvlT1_,@function
_ZN8rajaperf9polybench18poly_jacobi_2D_lamILm32ELm8EZNS0_19POLYBENCH_JACOBI_2D17runHipVariantImplILm256EEEvNS_9VariantIDEEUlllE_EEvlT1_: ; @_ZN8rajaperf9polybench18poly_jacobi_2D_lamILm32ELm8EZNS0_19POLYBENCH_JACOBI_2D17runHipVariantImplILm256EEEvNS_9VariantIDEEUlllE_EEvlT1_
; %bb.0:
	s_load_b64 s[4:5], s[0:1], 0x0
	v_bfe_u32 v1, v0, 10, 10
	v_and_b32_e32 v2, 0x3ff, v0
	s_mov_b32 s2, s15
	s_mov_b32 s3, 0
	s_delay_alu instid0(VALU_DEP_2) | instskip(NEXT) | instid1(VALU_DEP_2)
	v_add_nc_u32_e32 v0, 1, v1
	v_add_nc_u32_e32 v3, 1, v2
	s_mov_b32 s15, s3
	s_lshl_b64 s[2:3], s[2:3], 3
	s_lshl_b64 s[8:9], s[14:15], 5
	v_add_co_u32 v0, s2, s2, v0
	s_delay_alu instid0(VALU_DEP_1) | instskip(SKIP_1) | instid1(VALU_DEP_1)
	v_add_co_ci_u32_e64 v1, null, s3, 0, s2
	v_add_co_u32 v3, s2, s8, v3
	v_add_co_ci_u32_e64 v4, null, s9, 0, s2
	s_waitcnt lgkmcnt(0)
	s_add_u32 s2, s4, -1
	s_addc_u32 s3, s5, -1
	s_delay_alu instid0(SALU_CYCLE_1) | instskip(SKIP_1) | instid1(VALU_DEP_1)
	v_cmp_gt_i64_e32 vcc_lo, s[2:3], v[0:1]
	v_cmp_gt_i64_e64 s2, s[2:3], v[3:4]
	s_and_b32 s2, vcc_lo, s2
	s_delay_alu instid0(SALU_CYCLE_1)
	s_and_saveexec_b32 s3, s2
	s_cbranch_execz .LBB2_2
; %bb.1:
	s_clause 0x1
	s_load_b128 s[4:7], s[0:1], 0x8
	s_load_b64 s[0:1], s[0:1], 0x18
	s_waitcnt lgkmcnt(0)
	v_mul_lo_u32 v3, s7, v0
	v_mul_lo_u32 v6, s6, v1
	v_mad_u64_u32 v[4:5], null, s6, v0, 0
	v_add_co_u32 v0, s2, s8, v2
	s_delay_alu instid0(VALU_DEP_1) | instskip(NEXT) | instid1(VALU_DEP_3)
	v_add_co_ci_u32_e64 v1, null, s9, 0, s2
	v_add3_u32 v5, v5, v6, v3
	s_delay_alu instid0(VALU_DEP_2) | instskip(NEXT) | instid1(VALU_DEP_2)
	v_lshlrev_b64 v[6:7], 3, v[0:1]
	v_lshlrev_b64 v[8:9], 3, v[4:5]
	s_delay_alu instid0(VALU_DEP_2) | instskip(NEXT) | instid1(VALU_DEP_3)
	v_add_co_u32 v14, vcc_lo, s0, v6
	v_add_co_ci_u32_e32 v15, vcc_lo, s1, v7, vcc_lo
	s_lshl_b64 s[0:1], s[6:7], 1
	s_delay_alu instid0(VALU_DEP_2) | instskip(NEXT) | instid1(VALU_DEP_2)
	v_add_co_u32 v10, vcc_lo, v14, v8
	v_add_co_ci_u32_e32 v11, vcc_lo, v15, v9, vcc_lo
	s_clause 0x1
	global_load_b128 v[0:3], v[10:11], off
	global_load_b64 v[10:11], v[10:11], off offset:16
	v_add_co_u32 v4, vcc_lo, v4, s6
	v_add_co_ci_u32_e32 v5, vcc_lo, s7, v5, vcc_lo
	s_delay_alu instid0(VALU_DEP_1) | instskip(NEXT) | instid1(VALU_DEP_1)
	v_lshlrev_b64 v[12:13], 3, v[4:5]
	v_add_co_u32 v12, vcc_lo, v14, v12
	s_delay_alu instid0(VALU_DEP_2)
	v_add_co_ci_u32_e32 v13, vcc_lo, v15, v13, vcc_lo
	v_sub_co_u32 v4, vcc_lo, v4, s0
	v_subrev_co_ci_u32_e32 v5, vcc_lo, s1, v5, vcc_lo
	global_load_b64 v[12:13], v[12:13], off offset:8
	s_mov_b32 s0, 0x9999999a
	s_mov_b32 s1, 0x3fc99999
	v_lshlrev_b64 v[4:5], 3, v[4:5]
	s_delay_alu instid0(VALU_DEP_1) | instskip(NEXT) | instid1(VALU_DEP_2)
	v_add_co_u32 v4, vcc_lo, v14, v4
	v_add_co_ci_u32_e32 v5, vcc_lo, v15, v5, vcc_lo
	global_load_b64 v[4:5], v[4:5], off offset:8
	s_waitcnt vmcnt(3)
	v_add_f64 v[0:1], v[2:3], v[0:1]
	v_add_co_u32 v2, vcc_lo, s4, v8
	v_add_co_ci_u32_e32 v3, vcc_lo, s5, v9, vcc_lo
	s_delay_alu instid0(VALU_DEP_2) | instskip(NEXT) | instid1(VALU_DEP_2)
	v_add_co_u32 v2, vcc_lo, v2, v6
	v_add_co_ci_u32_e32 v3, vcc_lo, v3, v7, vcc_lo
	s_waitcnt vmcnt(2)
	v_add_f64 v[0:1], v[0:1], v[10:11]
	s_waitcnt vmcnt(1)
	s_delay_alu instid0(VALU_DEP_1) | instskip(SKIP_1) | instid1(VALU_DEP_1)
	v_add_f64 v[0:1], v[0:1], v[12:13]
	s_waitcnt vmcnt(0)
	v_add_f64 v[0:1], v[0:1], v[4:5]
	s_delay_alu instid0(VALU_DEP_1)
	v_mul_f64 v[0:1], v[0:1], s[0:1]
	global_store_b64 v[2:3], v[0:1], off offset:8
.LBB2_2:
	s_nop 0
	s_sendmsg sendmsg(MSG_DEALLOC_VGPRS)
	s_endpgm
	.section	.rodata,"a",@progbits
	.p2align	6, 0x0
	.amdhsa_kernel _ZN8rajaperf9polybench18poly_jacobi_2D_lamILm32ELm8EZNS0_19POLYBENCH_JACOBI_2D17runHipVariantImplILm256EEEvNS_9VariantIDEEUlllE_EEvlT1_
		.amdhsa_group_segment_fixed_size 0
		.amdhsa_private_segment_fixed_size 0
		.amdhsa_kernarg_size 32
		.amdhsa_user_sgpr_count 14
		.amdhsa_user_sgpr_dispatch_ptr 0
		.amdhsa_user_sgpr_queue_ptr 0
		.amdhsa_user_sgpr_kernarg_segment_ptr 1
		.amdhsa_user_sgpr_dispatch_id 0
		.amdhsa_user_sgpr_private_segment_size 0
		.amdhsa_wavefront_size32 1
		.amdhsa_uses_dynamic_stack 0
		.amdhsa_enable_private_segment 0
		.amdhsa_system_sgpr_workgroup_id_x 1
		.amdhsa_system_sgpr_workgroup_id_y 1
		.amdhsa_system_sgpr_workgroup_id_z 0
		.amdhsa_system_sgpr_workgroup_info 0
		.amdhsa_system_vgpr_workitem_id 1
		.amdhsa_next_free_vgpr 16
		.amdhsa_next_free_sgpr 16
		.amdhsa_reserve_vcc 1
		.amdhsa_float_round_mode_32 0
		.amdhsa_float_round_mode_16_64 0
		.amdhsa_float_denorm_mode_32 3
		.amdhsa_float_denorm_mode_16_64 3
		.amdhsa_dx10_clamp 1
		.amdhsa_ieee_mode 1
		.amdhsa_fp16_overflow 0
		.amdhsa_workgroup_processor_mode 1
		.amdhsa_memory_ordered 1
		.amdhsa_forward_progress 0
		.amdhsa_shared_vgpr_count 0
		.amdhsa_exception_fp_ieee_invalid_op 0
		.amdhsa_exception_fp_denorm_src 0
		.amdhsa_exception_fp_ieee_div_zero 0
		.amdhsa_exception_fp_ieee_overflow 0
		.amdhsa_exception_fp_ieee_underflow 0
		.amdhsa_exception_fp_ieee_inexact 0
		.amdhsa_exception_int_div_zero 0
	.end_amdhsa_kernel
	.section	.text._ZN8rajaperf9polybench18poly_jacobi_2D_lamILm32ELm8EZNS0_19POLYBENCH_JACOBI_2D17runHipVariantImplILm256EEEvNS_9VariantIDEEUlllE_EEvlT1_,"axG",@progbits,_ZN8rajaperf9polybench18poly_jacobi_2D_lamILm32ELm8EZNS0_19POLYBENCH_JACOBI_2D17runHipVariantImplILm256EEEvNS_9VariantIDEEUlllE_EEvlT1_,comdat
.Lfunc_end2:
	.size	_ZN8rajaperf9polybench18poly_jacobi_2D_lamILm32ELm8EZNS0_19POLYBENCH_JACOBI_2D17runHipVariantImplILm256EEEvNS_9VariantIDEEUlllE_EEvlT1_, .Lfunc_end2-_ZN8rajaperf9polybench18poly_jacobi_2D_lamILm32ELm8EZNS0_19POLYBENCH_JACOBI_2D17runHipVariantImplILm256EEEvNS_9VariantIDEEUlllE_EEvlT1_
                                        ; -- End function
	.section	.AMDGPU.csdata,"",@progbits
; Kernel info:
; codeLenInByte = 508
; NumSgprs: 18
; NumVgprs: 16
; ScratchSize: 0
; MemoryBound: 0
; FloatMode: 240
; IeeeMode: 1
; LDSByteSize: 0 bytes/workgroup (compile time only)
; SGPRBlocks: 2
; VGPRBlocks: 1
; NumSGPRsForWavesPerEU: 18
; NumVGPRsForWavesPerEU: 16
; Occupancy: 16
; WaveLimiterHint : 0
; COMPUTE_PGM_RSRC2:SCRATCH_EN: 0
; COMPUTE_PGM_RSRC2:USER_SGPR: 14
; COMPUTE_PGM_RSRC2:TRAP_HANDLER: 0
; COMPUTE_PGM_RSRC2:TGID_X_EN: 1
; COMPUTE_PGM_RSRC2:TGID_Y_EN: 1
; COMPUTE_PGM_RSRC2:TGID_Z_EN: 0
; COMPUTE_PGM_RSRC2:TIDIG_COMP_CNT: 1
	.section	.text._ZN8rajaperf9polybench18poly_jacobi_2D_lamILm32ELm8EZNS0_19POLYBENCH_JACOBI_2D17runHipVariantImplILm256EEEvNS_9VariantIDEEUlllE0_EEvlT1_,"axG",@progbits,_ZN8rajaperf9polybench18poly_jacobi_2D_lamILm32ELm8EZNS0_19POLYBENCH_JACOBI_2D17runHipVariantImplILm256EEEvNS_9VariantIDEEUlllE0_EEvlT1_,comdat
	.protected	_ZN8rajaperf9polybench18poly_jacobi_2D_lamILm32ELm8EZNS0_19POLYBENCH_JACOBI_2D17runHipVariantImplILm256EEEvNS_9VariantIDEEUlllE0_EEvlT1_ ; -- Begin function _ZN8rajaperf9polybench18poly_jacobi_2D_lamILm32ELm8EZNS0_19POLYBENCH_JACOBI_2D17runHipVariantImplILm256EEEvNS_9VariantIDEEUlllE0_EEvlT1_
	.globl	_ZN8rajaperf9polybench18poly_jacobi_2D_lamILm32ELm8EZNS0_19POLYBENCH_JACOBI_2D17runHipVariantImplILm256EEEvNS_9VariantIDEEUlllE0_EEvlT1_
	.p2align	8
	.type	_ZN8rajaperf9polybench18poly_jacobi_2D_lamILm32ELm8EZNS0_19POLYBENCH_JACOBI_2D17runHipVariantImplILm256EEEvNS_9VariantIDEEUlllE0_EEvlT1_,@function
_ZN8rajaperf9polybench18poly_jacobi_2D_lamILm32ELm8EZNS0_19POLYBENCH_JACOBI_2D17runHipVariantImplILm256EEEvNS_9VariantIDEEUlllE0_EEvlT1_: ; @_ZN8rajaperf9polybench18poly_jacobi_2D_lamILm32ELm8EZNS0_19POLYBENCH_JACOBI_2D17runHipVariantImplILm256EEEvNS_9VariantIDEEUlllE0_EEvlT1_
; %bb.0:
	s_load_b64 s[4:5], s[0:1], 0x0
	v_bfe_u32 v1, v0, 10, 10
	v_and_b32_e32 v2, 0x3ff, v0
	s_mov_b32 s2, s15
	s_mov_b32 s3, 0
	s_delay_alu instid0(VALU_DEP_2) | instskip(NEXT) | instid1(VALU_DEP_2)
	v_add_nc_u32_e32 v0, 1, v1
	v_add_nc_u32_e32 v3, 1, v2
	s_mov_b32 s15, s3
	s_lshl_b64 s[2:3], s[2:3], 3
	s_lshl_b64 s[8:9], s[14:15], 5
	v_add_co_u32 v0, s2, s2, v0
	s_delay_alu instid0(VALU_DEP_1) | instskip(SKIP_1) | instid1(VALU_DEP_1)
	v_add_co_ci_u32_e64 v1, null, s3, 0, s2
	v_add_co_u32 v3, s2, s8, v3
	v_add_co_ci_u32_e64 v4, null, s9, 0, s2
	s_waitcnt lgkmcnt(0)
	s_add_u32 s2, s4, -1
	s_addc_u32 s3, s5, -1
	s_delay_alu instid0(SALU_CYCLE_1) | instskip(SKIP_1) | instid1(VALU_DEP_1)
	v_cmp_gt_i64_e32 vcc_lo, s[2:3], v[0:1]
	v_cmp_gt_i64_e64 s2, s[2:3], v[3:4]
	s_and_b32 s2, vcc_lo, s2
	s_delay_alu instid0(SALU_CYCLE_1)
	s_and_saveexec_b32 s3, s2
	s_cbranch_execz .LBB3_2
; %bb.1:
	s_clause 0x1
	s_load_b128 s[4:7], s[0:1], 0x8
	s_load_b64 s[0:1], s[0:1], 0x18
	s_waitcnt lgkmcnt(0)
	v_mul_lo_u32 v3, s7, v0
	v_mul_lo_u32 v6, s6, v1
	v_mad_u64_u32 v[4:5], null, s6, v0, 0
	v_add_co_u32 v0, s2, s8, v2
	s_delay_alu instid0(VALU_DEP_1) | instskip(NEXT) | instid1(VALU_DEP_3)
	v_add_co_ci_u32_e64 v1, null, s9, 0, s2
	v_add3_u32 v5, v5, v6, v3
	s_delay_alu instid0(VALU_DEP_2) | instskip(NEXT) | instid1(VALU_DEP_2)
	v_lshlrev_b64 v[6:7], 3, v[0:1]
	v_lshlrev_b64 v[8:9], 3, v[4:5]
	s_delay_alu instid0(VALU_DEP_2) | instskip(NEXT) | instid1(VALU_DEP_3)
	v_add_co_u32 v14, vcc_lo, s0, v6
	v_add_co_ci_u32_e32 v15, vcc_lo, s1, v7, vcc_lo
	s_lshl_b64 s[0:1], s[6:7], 1
	s_delay_alu instid0(VALU_DEP_2) | instskip(NEXT) | instid1(VALU_DEP_2)
	v_add_co_u32 v10, vcc_lo, v14, v8
	v_add_co_ci_u32_e32 v11, vcc_lo, v15, v9, vcc_lo
	s_clause 0x1
	global_load_b128 v[0:3], v[10:11], off
	global_load_b64 v[10:11], v[10:11], off offset:16
	v_add_co_u32 v4, vcc_lo, v4, s6
	v_add_co_ci_u32_e32 v5, vcc_lo, s7, v5, vcc_lo
	s_delay_alu instid0(VALU_DEP_1) | instskip(NEXT) | instid1(VALU_DEP_1)
	v_lshlrev_b64 v[12:13], 3, v[4:5]
	v_add_co_u32 v12, vcc_lo, v14, v12
	s_delay_alu instid0(VALU_DEP_2)
	v_add_co_ci_u32_e32 v13, vcc_lo, v15, v13, vcc_lo
	v_sub_co_u32 v4, vcc_lo, v4, s0
	v_subrev_co_ci_u32_e32 v5, vcc_lo, s1, v5, vcc_lo
	global_load_b64 v[12:13], v[12:13], off offset:8
	s_mov_b32 s0, 0x9999999a
	s_mov_b32 s1, 0x3fc99999
	v_lshlrev_b64 v[4:5], 3, v[4:5]
	s_delay_alu instid0(VALU_DEP_1) | instskip(NEXT) | instid1(VALU_DEP_2)
	v_add_co_u32 v4, vcc_lo, v14, v4
	v_add_co_ci_u32_e32 v5, vcc_lo, v15, v5, vcc_lo
	global_load_b64 v[4:5], v[4:5], off offset:8
	s_waitcnt vmcnt(3)
	v_add_f64 v[0:1], v[2:3], v[0:1]
	v_add_co_u32 v2, vcc_lo, s4, v8
	v_add_co_ci_u32_e32 v3, vcc_lo, s5, v9, vcc_lo
	s_delay_alu instid0(VALU_DEP_2) | instskip(NEXT) | instid1(VALU_DEP_2)
	v_add_co_u32 v2, vcc_lo, v2, v6
	v_add_co_ci_u32_e32 v3, vcc_lo, v3, v7, vcc_lo
	s_waitcnt vmcnt(2)
	v_add_f64 v[0:1], v[0:1], v[10:11]
	s_waitcnt vmcnt(1)
	s_delay_alu instid0(VALU_DEP_1) | instskip(SKIP_1) | instid1(VALU_DEP_1)
	v_add_f64 v[0:1], v[0:1], v[12:13]
	s_waitcnt vmcnt(0)
	v_add_f64 v[0:1], v[0:1], v[4:5]
	s_delay_alu instid0(VALU_DEP_1)
	v_mul_f64 v[0:1], v[0:1], s[0:1]
	global_store_b64 v[2:3], v[0:1], off offset:8
.LBB3_2:
	s_nop 0
	s_sendmsg sendmsg(MSG_DEALLOC_VGPRS)
	s_endpgm
	.section	.rodata,"a",@progbits
	.p2align	6, 0x0
	.amdhsa_kernel _ZN8rajaperf9polybench18poly_jacobi_2D_lamILm32ELm8EZNS0_19POLYBENCH_JACOBI_2D17runHipVariantImplILm256EEEvNS_9VariantIDEEUlllE0_EEvlT1_
		.amdhsa_group_segment_fixed_size 0
		.amdhsa_private_segment_fixed_size 0
		.amdhsa_kernarg_size 32
		.amdhsa_user_sgpr_count 14
		.amdhsa_user_sgpr_dispatch_ptr 0
		.amdhsa_user_sgpr_queue_ptr 0
		.amdhsa_user_sgpr_kernarg_segment_ptr 1
		.amdhsa_user_sgpr_dispatch_id 0
		.amdhsa_user_sgpr_private_segment_size 0
		.amdhsa_wavefront_size32 1
		.amdhsa_uses_dynamic_stack 0
		.amdhsa_enable_private_segment 0
		.amdhsa_system_sgpr_workgroup_id_x 1
		.amdhsa_system_sgpr_workgroup_id_y 1
		.amdhsa_system_sgpr_workgroup_id_z 0
		.amdhsa_system_sgpr_workgroup_info 0
		.amdhsa_system_vgpr_workitem_id 1
		.amdhsa_next_free_vgpr 16
		.amdhsa_next_free_sgpr 16
		.amdhsa_reserve_vcc 1
		.amdhsa_float_round_mode_32 0
		.amdhsa_float_round_mode_16_64 0
		.amdhsa_float_denorm_mode_32 3
		.amdhsa_float_denorm_mode_16_64 3
		.amdhsa_dx10_clamp 1
		.amdhsa_ieee_mode 1
		.amdhsa_fp16_overflow 0
		.amdhsa_workgroup_processor_mode 1
		.amdhsa_memory_ordered 1
		.amdhsa_forward_progress 0
		.amdhsa_shared_vgpr_count 0
		.amdhsa_exception_fp_ieee_invalid_op 0
		.amdhsa_exception_fp_denorm_src 0
		.amdhsa_exception_fp_ieee_div_zero 0
		.amdhsa_exception_fp_ieee_overflow 0
		.amdhsa_exception_fp_ieee_underflow 0
		.amdhsa_exception_fp_ieee_inexact 0
		.amdhsa_exception_int_div_zero 0
	.end_amdhsa_kernel
	.section	.text._ZN8rajaperf9polybench18poly_jacobi_2D_lamILm32ELm8EZNS0_19POLYBENCH_JACOBI_2D17runHipVariantImplILm256EEEvNS_9VariantIDEEUlllE0_EEvlT1_,"axG",@progbits,_ZN8rajaperf9polybench18poly_jacobi_2D_lamILm32ELm8EZNS0_19POLYBENCH_JACOBI_2D17runHipVariantImplILm256EEEvNS_9VariantIDEEUlllE0_EEvlT1_,comdat
.Lfunc_end3:
	.size	_ZN8rajaperf9polybench18poly_jacobi_2D_lamILm32ELm8EZNS0_19POLYBENCH_JACOBI_2D17runHipVariantImplILm256EEEvNS_9VariantIDEEUlllE0_EEvlT1_, .Lfunc_end3-_ZN8rajaperf9polybench18poly_jacobi_2D_lamILm32ELm8EZNS0_19POLYBENCH_JACOBI_2D17runHipVariantImplILm256EEEvNS_9VariantIDEEUlllE0_EEvlT1_
                                        ; -- End function
	.section	.AMDGPU.csdata,"",@progbits
; Kernel info:
; codeLenInByte = 508
; NumSgprs: 18
; NumVgprs: 16
; ScratchSize: 0
; MemoryBound: 0
; FloatMode: 240
; IeeeMode: 1
; LDSByteSize: 0 bytes/workgroup (compile time only)
; SGPRBlocks: 2
; VGPRBlocks: 1
; NumSGPRsForWavesPerEU: 18
; NumVGPRsForWavesPerEU: 16
; Occupancy: 16
; WaveLimiterHint : 0
; COMPUTE_PGM_RSRC2:SCRATCH_EN: 0
; COMPUTE_PGM_RSRC2:USER_SGPR: 14
; COMPUTE_PGM_RSRC2:TRAP_HANDLER: 0
; COMPUTE_PGM_RSRC2:TGID_X_EN: 1
; COMPUTE_PGM_RSRC2:TGID_Y_EN: 1
; COMPUTE_PGM_RSRC2:TGID_Z_EN: 0
; COMPUTE_PGM_RSRC2:TIDIG_COMP_CNT: 1
	.section	.text._ZN4RAJA8internal22HipKernelLauncherFixedILi256ENS0_8LoopDataIN4camp5tupleIJNS_4SpanINS_9Iterators16numeric_iteratorIllPlEElEESA_EEENS4_IJEEENS3_9resources2v13HipEJZN8rajaperf9polybench19POLYBENCH_JACOBI_2D17runHipVariantImplILm256EEEvNSG_9VariantIDEEUlllE1_EEENS0_24HipStatementListExecutorISM_NS3_4listIJNS_9statement3ForILl0ENS_6policy3hip11hip_indexerINS_17iteration_mapping6DirectELNS_23kernel_sync_requirementE0EJNS_3hip11IndexGlobalILNS_9named_dimE1ELi8ELi0EEEEEEJNSQ_ILl1ENST_ISV_LSW_0EJNSY_ILSZ_0ELi32ELi0EEEEEEJNSP_6LambdaILl0EJEEEEEEEEEEEENS0_9LoopTypesINSO_IJvvEEES1A_EEEEEEvT0_,"axG",@progbits,_ZN4RAJA8internal22HipKernelLauncherFixedILi256ENS0_8LoopDataIN4camp5tupleIJNS_4SpanINS_9Iterators16numeric_iteratorIllPlEElEESA_EEENS4_IJEEENS3_9resources2v13HipEJZN8rajaperf9polybench19POLYBENCH_JACOBI_2D17runHipVariantImplILm256EEEvNSG_9VariantIDEEUlllE1_EEENS0_24HipStatementListExecutorISM_NS3_4listIJNS_9statement3ForILl0ENS_6policy3hip11hip_indexerINS_17iteration_mapping6DirectELNS_23kernel_sync_requirementE0EJNS_3hip11IndexGlobalILNS_9named_dimE1ELi8ELi0EEEEEEJNSQ_ILl1ENST_ISV_LSW_0EJNSY_ILSZ_0ELi32ELi0EEEEEEJNSP_6LambdaILl0EJEEEEEEEEEEEENS0_9LoopTypesINSO_IJvvEEES1A_EEEEEEvT0_,comdat
	.protected	_ZN4RAJA8internal22HipKernelLauncherFixedILi256ENS0_8LoopDataIN4camp5tupleIJNS_4SpanINS_9Iterators16numeric_iteratorIllPlEElEESA_EEENS4_IJEEENS3_9resources2v13HipEJZN8rajaperf9polybench19POLYBENCH_JACOBI_2D17runHipVariantImplILm256EEEvNSG_9VariantIDEEUlllE1_EEENS0_24HipStatementListExecutorISM_NS3_4listIJNS_9statement3ForILl0ENS_6policy3hip11hip_indexerINS_17iteration_mapping6DirectELNS_23kernel_sync_requirementE0EJNS_3hip11IndexGlobalILNS_9named_dimE1ELi8ELi0EEEEEEJNSQ_ILl1ENST_ISV_LSW_0EJNSY_ILSZ_0ELi32ELi0EEEEEEJNSP_6LambdaILl0EJEEEEEEEEEEEENS0_9LoopTypesINSO_IJvvEEES1A_EEEEEEvT0_ ; -- Begin function _ZN4RAJA8internal22HipKernelLauncherFixedILi256ENS0_8LoopDataIN4camp5tupleIJNS_4SpanINS_9Iterators16numeric_iteratorIllPlEElEESA_EEENS4_IJEEENS3_9resources2v13HipEJZN8rajaperf9polybench19POLYBENCH_JACOBI_2D17runHipVariantImplILm256EEEvNSG_9VariantIDEEUlllE1_EEENS0_24HipStatementListExecutorISM_NS3_4listIJNS_9statement3ForILl0ENS_6policy3hip11hip_indexerINS_17iteration_mapping6DirectELNS_23kernel_sync_requirementE0EJNS_3hip11IndexGlobalILNS_9named_dimE1ELi8ELi0EEEEEEJNSQ_ILl1ENST_ISV_LSW_0EJNSY_ILSZ_0ELi32ELi0EEEEEEJNSP_6LambdaILl0EJEEEEEEEEEEEENS0_9LoopTypesINSO_IJvvEEES1A_EEEEEEvT0_
	.globl	_ZN4RAJA8internal22HipKernelLauncherFixedILi256ENS0_8LoopDataIN4camp5tupleIJNS_4SpanINS_9Iterators16numeric_iteratorIllPlEElEESA_EEENS4_IJEEENS3_9resources2v13HipEJZN8rajaperf9polybench19POLYBENCH_JACOBI_2D17runHipVariantImplILm256EEEvNSG_9VariantIDEEUlllE1_EEENS0_24HipStatementListExecutorISM_NS3_4listIJNS_9statement3ForILl0ENS_6policy3hip11hip_indexerINS_17iteration_mapping6DirectELNS_23kernel_sync_requirementE0EJNS_3hip11IndexGlobalILNS_9named_dimE1ELi8ELi0EEEEEEJNSQ_ILl1ENST_ISV_LSW_0EJNSY_ILSZ_0ELi32ELi0EEEEEEJNSP_6LambdaILl0EJEEEEEEEEEEEENS0_9LoopTypesINSO_IJvvEEES1A_EEEEEEvT0_
	.p2align	8
	.type	_ZN4RAJA8internal22HipKernelLauncherFixedILi256ENS0_8LoopDataIN4camp5tupleIJNS_4SpanINS_9Iterators16numeric_iteratorIllPlEElEESA_EEENS4_IJEEENS3_9resources2v13HipEJZN8rajaperf9polybench19POLYBENCH_JACOBI_2D17runHipVariantImplILm256EEEvNSG_9VariantIDEEUlllE1_EEENS0_24HipStatementListExecutorISM_NS3_4listIJNS_9statement3ForILl0ENS_6policy3hip11hip_indexerINS_17iteration_mapping6DirectELNS_23kernel_sync_requirementE0EJNS_3hip11IndexGlobalILNS_9named_dimE1ELi8ELi0EEEEEEJNSQ_ILl1ENST_ISV_LSW_0EJNSY_ILSZ_0ELi32ELi0EEEEEEJNSP_6LambdaILl0EJEEEEEEEEEEEENS0_9LoopTypesINSO_IJvvEEES1A_EEEEEEvT0_,@function
_ZN4RAJA8internal22HipKernelLauncherFixedILi256ENS0_8LoopDataIN4camp5tupleIJNS_4SpanINS_9Iterators16numeric_iteratorIllPlEElEESA_EEENS4_IJEEENS3_9resources2v13HipEJZN8rajaperf9polybench19POLYBENCH_JACOBI_2D17runHipVariantImplILm256EEEvNSG_9VariantIDEEUlllE1_EEENS0_24HipStatementListExecutorISM_NS3_4listIJNS_9statement3ForILl0ENS_6policy3hip11hip_indexerINS_17iteration_mapping6DirectELNS_23kernel_sync_requirementE0EJNS_3hip11IndexGlobalILNS_9named_dimE1ELi8ELi0EEEEEEJNSQ_ILl1ENST_ISV_LSW_0EJNSY_ILSZ_0ELi32ELi0EEEEEEJNSP_6LambdaILl0EJEEEEEEEEEEEENS0_9LoopTypesINSO_IJvvEEES1A_EEEEEEvT0_: ; @_ZN4RAJA8internal22HipKernelLauncherFixedILi256ENS0_8LoopDataIN4camp5tupleIJNS_4SpanINS_9Iterators16numeric_iteratorIllPlEElEESA_EEENS4_IJEEENS3_9resources2v13HipEJZN8rajaperf9polybench19POLYBENCH_JACOBI_2D17runHipVariantImplILm256EEEvNSG_9VariantIDEEUlllE1_EEENS0_24HipStatementListExecutorISM_NS3_4listIJNS_9statement3ForILl0ENS_6policy3hip11hip_indexerINS_17iteration_mapping6DirectELNS_23kernel_sync_requirementE0EJNS_3hip11IndexGlobalILNS_9named_dimE1ELi8ELi0EEEEEEJNSQ_ILl1ENST_ISV_LSW_0EJNSY_ILSZ_0ELi32ELi0EEEEEEJNSP_6LambdaILl0EJEEEEEEEEEEEENS0_9LoopTypesINSO_IJvvEEES1A_EEEEEEvT0_
; %bb.0:
	s_load_b256 s[4:11], s[0:1], 0x0
	v_bfe_u32 v1, v0, 10, 10
	s_mov_b32 s2, s15
	s_mov_b32 s3, 0
	v_and_b32_e32 v0, 0x3ff, v0
	s_mov_b32 s15, s3
	s_waitcnt lgkmcnt(0)
	s_sub_u32 s6, s6, s4
	s_subb_u32 s7, s7, s5
	s_lshl_b64 s[2:3], s[2:3], 3
	s_sub_u32 s10, s10, s8
	v_add_co_u32 v2, s2, s2, v1
	s_delay_alu instid0(VALU_DEP_1) | instskip(SKIP_2) | instid1(SALU_CYCLE_1)
	v_add_co_ci_u32_e64 v3, null, s3, 0, s2
	s_subb_u32 s11, s11, s9
	s_lshl_b64 s[2:3], s[14:15], 5
	v_add_co_u32 v0, s2, s2, v0
	s_delay_alu instid0(VALU_DEP_1) | instskip(SKIP_1) | instid1(VALU_DEP_2)
	v_add_co_ci_u32_e64 v1, null, s3, 0, s2
	v_cmp_gt_i64_e32 vcc_lo, s[6:7], v[2:3]
	v_cmp_gt_i64_e64 s2, s[10:11], v[0:1]
	s_delay_alu instid0(VALU_DEP_1) | instskip(NEXT) | instid1(SALU_CYCLE_1)
	s_and_b32 s2, vcc_lo, s2
	s_and_saveexec_b32 s3, s2
	s_cbranch_execz .LBB4_2
; %bb.1:
	s_load_b64 s[2:3], s[0:1], 0x98
	v_add_co_u32 v12, vcc_lo, s4, v2
	v_add_co_ci_u32_e32 v13, vcc_lo, s5, v3, vcc_lo
	s_clause 0x1
	s_load_b64 s[4:5], s[0:1], 0x80
	s_load_b64 s[6:7], s[0:1], 0x50
	v_add_co_u32 v0, vcc_lo, s8, v0
	v_add_co_ci_u32_e32 v1, vcc_lo, s9, v1, vcc_lo
	s_load_b64 s[0:1], s[0:1], 0x38
	s_delay_alu instid0(VALU_DEP_1)
	v_lshlrev_b64 v[6:7], 3, v[0:1]
	s_waitcnt lgkmcnt(0)
	v_mul_lo_u32 v2, s3, v12
	v_mul_lo_u32 v3, s2, v13
	v_mad_u64_u32 v[4:5], null, s2, v12, 0
	s_lshl_b64 s[8:9], s[2:3], 3
	s_delay_alu instid0(VALU_DEP_1) | instskip(NEXT) | instid1(VALU_DEP_1)
	v_add3_u32 v5, v5, v3, v2
	v_lshlrev_b64 v[2:3], 3, v[4:5]
	s_delay_alu instid0(VALU_DEP_1) | instskip(NEXT) | instid1(VALU_DEP_2)
	v_add_co_u32 v0, vcc_lo, s4, v2
	v_add_co_ci_u32_e32 v1, vcc_lo, s5, v3, vcc_lo
	s_delay_alu instid0(VALU_DEP_2) | instskip(NEXT) | instid1(VALU_DEP_2)
	v_add_co_u32 v8, vcc_lo, v0, v6
	v_add_co_ci_u32_e32 v9, vcc_lo, v1, v7, vcc_lo
	s_clause 0x1
	global_load_b128 v[0:3], v[8:9], off offset:-8
	global_load_b64 v[10:11], v[8:9], off offset:8
	v_add_co_u32 v8, vcc_lo, v8, s8
	v_add_co_ci_u32_e32 v9, vcc_lo, s9, v9, vcc_lo
	v_add_co_u32 v4, vcc_lo, v4, s2
	v_add_co_ci_u32_e32 v5, vcc_lo, s3, v5, vcc_lo
	global_load_b64 v[8:9], v[8:9], off
	s_lshl_b64 s[2:3], s[2:3], 1
	s_delay_alu instid0(SALU_CYCLE_1) | instskip(SKIP_3) | instid1(VALU_DEP_1)
	v_sub_co_u32 v4, vcc_lo, v4, s2
	v_subrev_co_ci_u32_e32 v5, vcc_lo, s3, v5, vcc_lo
	s_mov_b32 s2, 0x9999999a
	s_mov_b32 s3, 0x3fc99999
	v_lshlrev_b64 v[4:5], 3, v[4:5]
	s_delay_alu instid0(VALU_DEP_1) | instskip(NEXT) | instid1(VALU_DEP_2)
	v_add_co_u32 v4, vcc_lo, s4, v4
	v_add_co_ci_u32_e32 v5, vcc_lo, s5, v5, vcc_lo
	s_delay_alu instid0(VALU_DEP_2) | instskip(NEXT) | instid1(VALU_DEP_2)
	v_add_co_u32 v4, vcc_lo, v4, v6
	v_add_co_ci_u32_e32 v5, vcc_lo, v5, v7, vcc_lo
	global_load_b64 v[4:5], v[4:5], off
	s_waitcnt vmcnt(3)
	v_add_f64 v[0:1], v[2:3], v[0:1]
	v_mad_u64_u32 v[2:3], null, s6, v12, 0
	s_waitcnt vmcnt(2)
	s_delay_alu instid0(VALU_DEP_2) | instskip(SKIP_1) | instid1(VALU_DEP_1)
	v_add_f64 v[0:1], v[0:1], v[10:11]
	s_waitcnt vmcnt(1)
	v_add_f64 v[0:1], v[0:1], v[8:9]
	s_waitcnt vmcnt(0)
	s_delay_alu instid0(VALU_DEP_1) | instskip(SKIP_2) | instid1(VALU_DEP_1)
	v_add_f64 v[0:1], v[0:1], v[4:5]
	v_mul_lo_u32 v4, s7, v12
	v_mul_lo_u32 v5, s6, v13
	v_add3_u32 v3, v3, v5, v4
	s_delay_alu instid0(VALU_DEP_1) | instskip(NEXT) | instid1(VALU_DEP_1)
	v_lshlrev_b64 v[2:3], 3, v[2:3]
	v_add_co_u32 v2, vcc_lo, s0, v2
	s_delay_alu instid0(VALU_DEP_2) | instskip(NEXT) | instid1(VALU_DEP_2)
	v_add_co_ci_u32_e32 v3, vcc_lo, s1, v3, vcc_lo
	v_add_co_u32 v2, vcc_lo, v2, v6
	s_delay_alu instid0(VALU_DEP_2)
	v_add_co_ci_u32_e32 v3, vcc_lo, v3, v7, vcc_lo
	v_mul_f64 v[0:1], v[0:1], s[2:3]
	global_store_b64 v[2:3], v[0:1], off
.LBB4_2:
	s_nop 0
	s_sendmsg sendmsg(MSG_DEALLOC_VGPRS)
	s_endpgm
	.section	.rodata,"a",@progbits
	.p2align	6, 0x0
	.amdhsa_kernel _ZN4RAJA8internal22HipKernelLauncherFixedILi256ENS0_8LoopDataIN4camp5tupleIJNS_4SpanINS_9Iterators16numeric_iteratorIllPlEElEESA_EEENS4_IJEEENS3_9resources2v13HipEJZN8rajaperf9polybench19POLYBENCH_JACOBI_2D17runHipVariantImplILm256EEEvNSG_9VariantIDEEUlllE1_EEENS0_24HipStatementListExecutorISM_NS3_4listIJNS_9statement3ForILl0ENS_6policy3hip11hip_indexerINS_17iteration_mapping6DirectELNS_23kernel_sync_requirementE0EJNS_3hip11IndexGlobalILNS_9named_dimE1ELi8ELi0EEEEEEJNSQ_ILl1ENST_ISV_LSW_0EJNSY_ILSZ_0ELi32ELi0EEEEEEJNSP_6LambdaILl0EJEEEEEEEEEEEENS0_9LoopTypesINSO_IJvvEEES1A_EEEEEEvT0_
		.amdhsa_group_segment_fixed_size 0
		.amdhsa_private_segment_fixed_size 0
		.amdhsa_kernarg_size 224
		.amdhsa_user_sgpr_count 14
		.amdhsa_user_sgpr_dispatch_ptr 0
		.amdhsa_user_sgpr_queue_ptr 0
		.amdhsa_user_sgpr_kernarg_segment_ptr 1
		.amdhsa_user_sgpr_dispatch_id 0
		.amdhsa_user_sgpr_private_segment_size 0
		.amdhsa_wavefront_size32 1
		.amdhsa_uses_dynamic_stack 0
		.amdhsa_enable_private_segment 0
		.amdhsa_system_sgpr_workgroup_id_x 1
		.amdhsa_system_sgpr_workgroup_id_y 1
		.amdhsa_system_sgpr_workgroup_id_z 0
		.amdhsa_system_sgpr_workgroup_info 0
		.amdhsa_system_vgpr_workitem_id 1
		.amdhsa_next_free_vgpr 14
		.amdhsa_next_free_sgpr 16
		.amdhsa_reserve_vcc 1
		.amdhsa_float_round_mode_32 0
		.amdhsa_float_round_mode_16_64 0
		.amdhsa_float_denorm_mode_32 3
		.amdhsa_float_denorm_mode_16_64 3
		.amdhsa_dx10_clamp 1
		.amdhsa_ieee_mode 1
		.amdhsa_fp16_overflow 0
		.amdhsa_workgroup_processor_mode 1
		.amdhsa_memory_ordered 1
		.amdhsa_forward_progress 0
		.amdhsa_shared_vgpr_count 0
		.amdhsa_exception_fp_ieee_invalid_op 0
		.amdhsa_exception_fp_denorm_src 0
		.amdhsa_exception_fp_ieee_div_zero 0
		.amdhsa_exception_fp_ieee_overflow 0
		.amdhsa_exception_fp_ieee_underflow 0
		.amdhsa_exception_fp_ieee_inexact 0
		.amdhsa_exception_int_div_zero 0
	.end_amdhsa_kernel
	.section	.text._ZN4RAJA8internal22HipKernelLauncherFixedILi256ENS0_8LoopDataIN4camp5tupleIJNS_4SpanINS_9Iterators16numeric_iteratorIllPlEElEESA_EEENS4_IJEEENS3_9resources2v13HipEJZN8rajaperf9polybench19POLYBENCH_JACOBI_2D17runHipVariantImplILm256EEEvNSG_9VariantIDEEUlllE1_EEENS0_24HipStatementListExecutorISM_NS3_4listIJNS_9statement3ForILl0ENS_6policy3hip11hip_indexerINS_17iteration_mapping6DirectELNS_23kernel_sync_requirementE0EJNS_3hip11IndexGlobalILNS_9named_dimE1ELi8ELi0EEEEEEJNSQ_ILl1ENST_ISV_LSW_0EJNSY_ILSZ_0ELi32ELi0EEEEEEJNSP_6LambdaILl0EJEEEEEEEEEEEENS0_9LoopTypesINSO_IJvvEEES1A_EEEEEEvT0_,"axG",@progbits,_ZN4RAJA8internal22HipKernelLauncherFixedILi256ENS0_8LoopDataIN4camp5tupleIJNS_4SpanINS_9Iterators16numeric_iteratorIllPlEElEESA_EEENS4_IJEEENS3_9resources2v13HipEJZN8rajaperf9polybench19POLYBENCH_JACOBI_2D17runHipVariantImplILm256EEEvNSG_9VariantIDEEUlllE1_EEENS0_24HipStatementListExecutorISM_NS3_4listIJNS_9statement3ForILl0ENS_6policy3hip11hip_indexerINS_17iteration_mapping6DirectELNS_23kernel_sync_requirementE0EJNS_3hip11IndexGlobalILNS_9named_dimE1ELi8ELi0EEEEEEJNSQ_ILl1ENST_ISV_LSW_0EJNSY_ILSZ_0ELi32ELi0EEEEEEJNSP_6LambdaILl0EJEEEEEEEEEEEENS0_9LoopTypesINSO_IJvvEEES1A_EEEEEEvT0_,comdat
.Lfunc_end4:
	.size	_ZN4RAJA8internal22HipKernelLauncherFixedILi256ENS0_8LoopDataIN4camp5tupleIJNS_4SpanINS_9Iterators16numeric_iteratorIllPlEElEESA_EEENS4_IJEEENS3_9resources2v13HipEJZN8rajaperf9polybench19POLYBENCH_JACOBI_2D17runHipVariantImplILm256EEEvNSG_9VariantIDEEUlllE1_EEENS0_24HipStatementListExecutorISM_NS3_4listIJNS_9statement3ForILl0ENS_6policy3hip11hip_indexerINS_17iteration_mapping6DirectELNS_23kernel_sync_requirementE0EJNS_3hip11IndexGlobalILNS_9named_dimE1ELi8ELi0EEEEEEJNSQ_ILl1ENST_ISV_LSW_0EJNSY_ILSZ_0ELi32ELi0EEEEEEJNSP_6LambdaILl0EJEEEEEEEEEEEENS0_9LoopTypesINSO_IJvvEEES1A_EEEEEEvT0_, .Lfunc_end4-_ZN4RAJA8internal22HipKernelLauncherFixedILi256ENS0_8LoopDataIN4camp5tupleIJNS_4SpanINS_9Iterators16numeric_iteratorIllPlEElEESA_EEENS4_IJEEENS3_9resources2v13HipEJZN8rajaperf9polybench19POLYBENCH_JACOBI_2D17runHipVariantImplILm256EEEvNSG_9VariantIDEEUlllE1_EEENS0_24HipStatementListExecutorISM_NS3_4listIJNS_9statement3ForILl0ENS_6policy3hip11hip_indexerINS_17iteration_mapping6DirectELNS_23kernel_sync_requirementE0EJNS_3hip11IndexGlobalILNS_9named_dimE1ELi8ELi0EEEEEEJNSQ_ILl1ENST_ISV_LSW_0EJNSY_ILSZ_0ELi32ELi0EEEEEEJNSP_6LambdaILl0EJEEEEEEEEEEEENS0_9LoopTypesINSO_IJvvEEES1A_EEEEEEvT0_
                                        ; -- End function
	.section	.AMDGPU.csdata,"",@progbits
; Kernel info:
; codeLenInByte = 584
; NumSgprs: 18
; NumVgprs: 14
; ScratchSize: 0
; MemoryBound: 0
; FloatMode: 240
; IeeeMode: 1
; LDSByteSize: 0 bytes/workgroup (compile time only)
; SGPRBlocks: 2
; VGPRBlocks: 1
; NumSGPRsForWavesPerEU: 18
; NumVGPRsForWavesPerEU: 14
; Occupancy: 16
; WaveLimiterHint : 0
; COMPUTE_PGM_RSRC2:SCRATCH_EN: 0
; COMPUTE_PGM_RSRC2:USER_SGPR: 14
; COMPUTE_PGM_RSRC2:TRAP_HANDLER: 0
; COMPUTE_PGM_RSRC2:TGID_X_EN: 1
; COMPUTE_PGM_RSRC2:TGID_Y_EN: 1
; COMPUTE_PGM_RSRC2:TGID_Z_EN: 0
; COMPUTE_PGM_RSRC2:TIDIG_COMP_CNT: 1
	.section	.text._ZN4RAJA8internal22HipKernelLauncherFixedILi256ENS0_8LoopDataIN4camp5tupleIJNS_4SpanINS_9Iterators16numeric_iteratorIllPlEElEESA_EEENS4_IJEEENS3_9resources2v13HipEJZN8rajaperf9polybench19POLYBENCH_JACOBI_2D17runHipVariantImplILm256EEEvNSG_9VariantIDEEUlllE2_EEENS0_24HipStatementListExecutorISM_NS3_4listIJNS_9statement3ForILl0ENS_6policy3hip11hip_indexerINS_17iteration_mapping6DirectELNS_23kernel_sync_requirementE0EJNS_3hip11IndexGlobalILNS_9named_dimE1ELi8ELi0EEEEEEJNSQ_ILl1ENST_ISV_LSW_0EJNSY_ILSZ_0ELi32ELi0EEEEEEJNSP_6LambdaILl0EJEEEEEEEEEEEENS0_9LoopTypesINSO_IJvvEEES1A_EEEEEEvT0_,"axG",@progbits,_ZN4RAJA8internal22HipKernelLauncherFixedILi256ENS0_8LoopDataIN4camp5tupleIJNS_4SpanINS_9Iterators16numeric_iteratorIllPlEElEESA_EEENS4_IJEEENS3_9resources2v13HipEJZN8rajaperf9polybench19POLYBENCH_JACOBI_2D17runHipVariantImplILm256EEEvNSG_9VariantIDEEUlllE2_EEENS0_24HipStatementListExecutorISM_NS3_4listIJNS_9statement3ForILl0ENS_6policy3hip11hip_indexerINS_17iteration_mapping6DirectELNS_23kernel_sync_requirementE0EJNS_3hip11IndexGlobalILNS_9named_dimE1ELi8ELi0EEEEEEJNSQ_ILl1ENST_ISV_LSW_0EJNSY_ILSZ_0ELi32ELi0EEEEEEJNSP_6LambdaILl0EJEEEEEEEEEEEENS0_9LoopTypesINSO_IJvvEEES1A_EEEEEEvT0_,comdat
	.protected	_ZN4RAJA8internal22HipKernelLauncherFixedILi256ENS0_8LoopDataIN4camp5tupleIJNS_4SpanINS_9Iterators16numeric_iteratorIllPlEElEESA_EEENS4_IJEEENS3_9resources2v13HipEJZN8rajaperf9polybench19POLYBENCH_JACOBI_2D17runHipVariantImplILm256EEEvNSG_9VariantIDEEUlllE2_EEENS0_24HipStatementListExecutorISM_NS3_4listIJNS_9statement3ForILl0ENS_6policy3hip11hip_indexerINS_17iteration_mapping6DirectELNS_23kernel_sync_requirementE0EJNS_3hip11IndexGlobalILNS_9named_dimE1ELi8ELi0EEEEEEJNSQ_ILl1ENST_ISV_LSW_0EJNSY_ILSZ_0ELi32ELi0EEEEEEJNSP_6LambdaILl0EJEEEEEEEEEEEENS0_9LoopTypesINSO_IJvvEEES1A_EEEEEEvT0_ ; -- Begin function _ZN4RAJA8internal22HipKernelLauncherFixedILi256ENS0_8LoopDataIN4camp5tupleIJNS_4SpanINS_9Iterators16numeric_iteratorIllPlEElEESA_EEENS4_IJEEENS3_9resources2v13HipEJZN8rajaperf9polybench19POLYBENCH_JACOBI_2D17runHipVariantImplILm256EEEvNSG_9VariantIDEEUlllE2_EEENS0_24HipStatementListExecutorISM_NS3_4listIJNS_9statement3ForILl0ENS_6policy3hip11hip_indexerINS_17iteration_mapping6DirectELNS_23kernel_sync_requirementE0EJNS_3hip11IndexGlobalILNS_9named_dimE1ELi8ELi0EEEEEEJNSQ_ILl1ENST_ISV_LSW_0EJNSY_ILSZ_0ELi32ELi0EEEEEEJNSP_6LambdaILl0EJEEEEEEEEEEEENS0_9LoopTypesINSO_IJvvEEES1A_EEEEEEvT0_
	.globl	_ZN4RAJA8internal22HipKernelLauncherFixedILi256ENS0_8LoopDataIN4camp5tupleIJNS_4SpanINS_9Iterators16numeric_iteratorIllPlEElEESA_EEENS4_IJEEENS3_9resources2v13HipEJZN8rajaperf9polybench19POLYBENCH_JACOBI_2D17runHipVariantImplILm256EEEvNSG_9VariantIDEEUlllE2_EEENS0_24HipStatementListExecutorISM_NS3_4listIJNS_9statement3ForILl0ENS_6policy3hip11hip_indexerINS_17iteration_mapping6DirectELNS_23kernel_sync_requirementE0EJNS_3hip11IndexGlobalILNS_9named_dimE1ELi8ELi0EEEEEEJNSQ_ILl1ENST_ISV_LSW_0EJNSY_ILSZ_0ELi32ELi0EEEEEEJNSP_6LambdaILl0EJEEEEEEEEEEEENS0_9LoopTypesINSO_IJvvEEES1A_EEEEEEvT0_
	.p2align	8
	.type	_ZN4RAJA8internal22HipKernelLauncherFixedILi256ENS0_8LoopDataIN4camp5tupleIJNS_4SpanINS_9Iterators16numeric_iteratorIllPlEElEESA_EEENS4_IJEEENS3_9resources2v13HipEJZN8rajaperf9polybench19POLYBENCH_JACOBI_2D17runHipVariantImplILm256EEEvNSG_9VariantIDEEUlllE2_EEENS0_24HipStatementListExecutorISM_NS3_4listIJNS_9statement3ForILl0ENS_6policy3hip11hip_indexerINS_17iteration_mapping6DirectELNS_23kernel_sync_requirementE0EJNS_3hip11IndexGlobalILNS_9named_dimE1ELi8ELi0EEEEEEJNSQ_ILl1ENST_ISV_LSW_0EJNSY_ILSZ_0ELi32ELi0EEEEEEJNSP_6LambdaILl0EJEEEEEEEEEEEENS0_9LoopTypesINSO_IJvvEEES1A_EEEEEEvT0_,@function
_ZN4RAJA8internal22HipKernelLauncherFixedILi256ENS0_8LoopDataIN4camp5tupleIJNS_4SpanINS_9Iterators16numeric_iteratorIllPlEElEESA_EEENS4_IJEEENS3_9resources2v13HipEJZN8rajaperf9polybench19POLYBENCH_JACOBI_2D17runHipVariantImplILm256EEEvNSG_9VariantIDEEUlllE2_EEENS0_24HipStatementListExecutorISM_NS3_4listIJNS_9statement3ForILl0ENS_6policy3hip11hip_indexerINS_17iteration_mapping6DirectELNS_23kernel_sync_requirementE0EJNS_3hip11IndexGlobalILNS_9named_dimE1ELi8ELi0EEEEEEJNSQ_ILl1ENST_ISV_LSW_0EJNSY_ILSZ_0ELi32ELi0EEEEEEJNSP_6LambdaILl0EJEEEEEEEEEEEENS0_9LoopTypesINSO_IJvvEEES1A_EEEEEEvT0_: ; @_ZN4RAJA8internal22HipKernelLauncherFixedILi256ENS0_8LoopDataIN4camp5tupleIJNS_4SpanINS_9Iterators16numeric_iteratorIllPlEElEESA_EEENS4_IJEEENS3_9resources2v13HipEJZN8rajaperf9polybench19POLYBENCH_JACOBI_2D17runHipVariantImplILm256EEEvNSG_9VariantIDEEUlllE2_EEENS0_24HipStatementListExecutorISM_NS3_4listIJNS_9statement3ForILl0ENS_6policy3hip11hip_indexerINS_17iteration_mapping6DirectELNS_23kernel_sync_requirementE0EJNS_3hip11IndexGlobalILNS_9named_dimE1ELi8ELi0EEEEEEJNSQ_ILl1ENST_ISV_LSW_0EJNSY_ILSZ_0ELi32ELi0EEEEEEJNSP_6LambdaILl0EJEEEEEEEEEEEENS0_9LoopTypesINSO_IJvvEEES1A_EEEEEEvT0_
; %bb.0:
	s_load_b256 s[4:11], s[0:1], 0x0
	v_bfe_u32 v1, v0, 10, 10
	s_mov_b32 s2, s15
	s_mov_b32 s3, 0
	v_and_b32_e32 v0, 0x3ff, v0
	s_mov_b32 s15, s3
	s_waitcnt lgkmcnt(0)
	s_sub_u32 s6, s6, s4
	s_subb_u32 s7, s7, s5
	s_lshl_b64 s[2:3], s[2:3], 3
	s_sub_u32 s10, s10, s8
	v_add_co_u32 v2, s2, s2, v1
	s_delay_alu instid0(VALU_DEP_1) | instskip(SKIP_2) | instid1(SALU_CYCLE_1)
	v_add_co_ci_u32_e64 v3, null, s3, 0, s2
	s_subb_u32 s11, s11, s9
	s_lshl_b64 s[2:3], s[14:15], 5
	v_add_co_u32 v0, s2, s2, v0
	s_delay_alu instid0(VALU_DEP_1) | instskip(SKIP_1) | instid1(VALU_DEP_2)
	v_add_co_ci_u32_e64 v1, null, s3, 0, s2
	v_cmp_gt_i64_e32 vcc_lo, s[6:7], v[2:3]
	v_cmp_gt_i64_e64 s2, s[10:11], v[0:1]
	s_delay_alu instid0(VALU_DEP_1) | instskip(NEXT) | instid1(SALU_CYCLE_1)
	s_and_b32 s2, vcc_lo, s2
	s_and_saveexec_b32 s3, s2
	s_cbranch_execz .LBB5_2
; %bb.1:
	s_load_b64 s[2:3], s[0:1], 0x98
	v_add_co_u32 v12, vcc_lo, s4, v2
	v_add_co_ci_u32_e32 v13, vcc_lo, s5, v3, vcc_lo
	s_clause 0x1
	s_load_b64 s[4:5], s[0:1], 0x80
	s_load_b64 s[6:7], s[0:1], 0x50
	v_add_co_u32 v0, vcc_lo, s8, v0
	v_add_co_ci_u32_e32 v1, vcc_lo, s9, v1, vcc_lo
	s_load_b64 s[0:1], s[0:1], 0x38
	s_delay_alu instid0(VALU_DEP_1)
	v_lshlrev_b64 v[6:7], 3, v[0:1]
	s_waitcnt lgkmcnt(0)
	v_mul_lo_u32 v2, s3, v12
	v_mul_lo_u32 v3, s2, v13
	v_mad_u64_u32 v[4:5], null, s2, v12, 0
	s_lshl_b64 s[8:9], s[2:3], 3
	s_delay_alu instid0(VALU_DEP_1) | instskip(NEXT) | instid1(VALU_DEP_1)
	v_add3_u32 v5, v5, v3, v2
	v_lshlrev_b64 v[2:3], 3, v[4:5]
	s_delay_alu instid0(VALU_DEP_1) | instskip(NEXT) | instid1(VALU_DEP_2)
	v_add_co_u32 v0, vcc_lo, s4, v2
	v_add_co_ci_u32_e32 v1, vcc_lo, s5, v3, vcc_lo
	s_delay_alu instid0(VALU_DEP_2) | instskip(NEXT) | instid1(VALU_DEP_2)
	v_add_co_u32 v8, vcc_lo, v0, v6
	v_add_co_ci_u32_e32 v9, vcc_lo, v1, v7, vcc_lo
	s_clause 0x1
	global_load_b128 v[0:3], v[8:9], off offset:-8
	global_load_b64 v[10:11], v[8:9], off offset:8
	v_add_co_u32 v8, vcc_lo, v8, s8
	v_add_co_ci_u32_e32 v9, vcc_lo, s9, v9, vcc_lo
	v_add_co_u32 v4, vcc_lo, v4, s2
	v_add_co_ci_u32_e32 v5, vcc_lo, s3, v5, vcc_lo
	global_load_b64 v[8:9], v[8:9], off
	s_lshl_b64 s[2:3], s[2:3], 1
	s_delay_alu instid0(SALU_CYCLE_1) | instskip(SKIP_3) | instid1(VALU_DEP_1)
	v_sub_co_u32 v4, vcc_lo, v4, s2
	v_subrev_co_ci_u32_e32 v5, vcc_lo, s3, v5, vcc_lo
	s_mov_b32 s2, 0x9999999a
	s_mov_b32 s3, 0x3fc99999
	v_lshlrev_b64 v[4:5], 3, v[4:5]
	s_delay_alu instid0(VALU_DEP_1) | instskip(NEXT) | instid1(VALU_DEP_2)
	v_add_co_u32 v4, vcc_lo, s4, v4
	v_add_co_ci_u32_e32 v5, vcc_lo, s5, v5, vcc_lo
	s_delay_alu instid0(VALU_DEP_2) | instskip(NEXT) | instid1(VALU_DEP_2)
	v_add_co_u32 v4, vcc_lo, v4, v6
	v_add_co_ci_u32_e32 v5, vcc_lo, v5, v7, vcc_lo
	global_load_b64 v[4:5], v[4:5], off
	s_waitcnt vmcnt(3)
	v_add_f64 v[0:1], v[2:3], v[0:1]
	v_mad_u64_u32 v[2:3], null, s6, v12, 0
	s_waitcnt vmcnt(2)
	s_delay_alu instid0(VALU_DEP_2) | instskip(SKIP_1) | instid1(VALU_DEP_1)
	v_add_f64 v[0:1], v[0:1], v[10:11]
	s_waitcnt vmcnt(1)
	v_add_f64 v[0:1], v[0:1], v[8:9]
	s_waitcnt vmcnt(0)
	s_delay_alu instid0(VALU_DEP_1) | instskip(SKIP_2) | instid1(VALU_DEP_1)
	v_add_f64 v[0:1], v[0:1], v[4:5]
	v_mul_lo_u32 v4, s7, v12
	v_mul_lo_u32 v5, s6, v13
	v_add3_u32 v3, v3, v5, v4
	s_delay_alu instid0(VALU_DEP_1) | instskip(NEXT) | instid1(VALU_DEP_1)
	v_lshlrev_b64 v[2:3], 3, v[2:3]
	v_add_co_u32 v2, vcc_lo, s0, v2
	s_delay_alu instid0(VALU_DEP_2) | instskip(NEXT) | instid1(VALU_DEP_2)
	v_add_co_ci_u32_e32 v3, vcc_lo, s1, v3, vcc_lo
	v_add_co_u32 v2, vcc_lo, v2, v6
	s_delay_alu instid0(VALU_DEP_2)
	v_add_co_ci_u32_e32 v3, vcc_lo, v3, v7, vcc_lo
	v_mul_f64 v[0:1], v[0:1], s[2:3]
	global_store_b64 v[2:3], v[0:1], off
.LBB5_2:
	s_nop 0
	s_sendmsg sendmsg(MSG_DEALLOC_VGPRS)
	s_endpgm
	.section	.rodata,"a",@progbits
	.p2align	6, 0x0
	.amdhsa_kernel _ZN4RAJA8internal22HipKernelLauncherFixedILi256ENS0_8LoopDataIN4camp5tupleIJNS_4SpanINS_9Iterators16numeric_iteratorIllPlEElEESA_EEENS4_IJEEENS3_9resources2v13HipEJZN8rajaperf9polybench19POLYBENCH_JACOBI_2D17runHipVariantImplILm256EEEvNSG_9VariantIDEEUlllE2_EEENS0_24HipStatementListExecutorISM_NS3_4listIJNS_9statement3ForILl0ENS_6policy3hip11hip_indexerINS_17iteration_mapping6DirectELNS_23kernel_sync_requirementE0EJNS_3hip11IndexGlobalILNS_9named_dimE1ELi8ELi0EEEEEEJNSQ_ILl1ENST_ISV_LSW_0EJNSY_ILSZ_0ELi32ELi0EEEEEEJNSP_6LambdaILl0EJEEEEEEEEEEEENS0_9LoopTypesINSO_IJvvEEES1A_EEEEEEvT0_
		.amdhsa_group_segment_fixed_size 0
		.amdhsa_private_segment_fixed_size 0
		.amdhsa_kernarg_size 224
		.amdhsa_user_sgpr_count 14
		.amdhsa_user_sgpr_dispatch_ptr 0
		.amdhsa_user_sgpr_queue_ptr 0
		.amdhsa_user_sgpr_kernarg_segment_ptr 1
		.amdhsa_user_sgpr_dispatch_id 0
		.amdhsa_user_sgpr_private_segment_size 0
		.amdhsa_wavefront_size32 1
		.amdhsa_uses_dynamic_stack 0
		.amdhsa_enable_private_segment 0
		.amdhsa_system_sgpr_workgroup_id_x 1
		.amdhsa_system_sgpr_workgroup_id_y 1
		.amdhsa_system_sgpr_workgroup_id_z 0
		.amdhsa_system_sgpr_workgroup_info 0
		.amdhsa_system_vgpr_workitem_id 1
		.amdhsa_next_free_vgpr 14
		.amdhsa_next_free_sgpr 16
		.amdhsa_reserve_vcc 1
		.amdhsa_float_round_mode_32 0
		.amdhsa_float_round_mode_16_64 0
		.amdhsa_float_denorm_mode_32 3
		.amdhsa_float_denorm_mode_16_64 3
		.amdhsa_dx10_clamp 1
		.amdhsa_ieee_mode 1
		.amdhsa_fp16_overflow 0
		.amdhsa_workgroup_processor_mode 1
		.amdhsa_memory_ordered 1
		.amdhsa_forward_progress 0
		.amdhsa_shared_vgpr_count 0
		.amdhsa_exception_fp_ieee_invalid_op 0
		.amdhsa_exception_fp_denorm_src 0
		.amdhsa_exception_fp_ieee_div_zero 0
		.amdhsa_exception_fp_ieee_overflow 0
		.amdhsa_exception_fp_ieee_underflow 0
		.amdhsa_exception_fp_ieee_inexact 0
		.amdhsa_exception_int_div_zero 0
	.end_amdhsa_kernel
	.section	.text._ZN4RAJA8internal22HipKernelLauncherFixedILi256ENS0_8LoopDataIN4camp5tupleIJNS_4SpanINS_9Iterators16numeric_iteratorIllPlEElEESA_EEENS4_IJEEENS3_9resources2v13HipEJZN8rajaperf9polybench19POLYBENCH_JACOBI_2D17runHipVariantImplILm256EEEvNSG_9VariantIDEEUlllE2_EEENS0_24HipStatementListExecutorISM_NS3_4listIJNS_9statement3ForILl0ENS_6policy3hip11hip_indexerINS_17iteration_mapping6DirectELNS_23kernel_sync_requirementE0EJNS_3hip11IndexGlobalILNS_9named_dimE1ELi8ELi0EEEEEEJNSQ_ILl1ENST_ISV_LSW_0EJNSY_ILSZ_0ELi32ELi0EEEEEEJNSP_6LambdaILl0EJEEEEEEEEEEEENS0_9LoopTypesINSO_IJvvEEES1A_EEEEEEvT0_,"axG",@progbits,_ZN4RAJA8internal22HipKernelLauncherFixedILi256ENS0_8LoopDataIN4camp5tupleIJNS_4SpanINS_9Iterators16numeric_iteratorIllPlEElEESA_EEENS4_IJEEENS3_9resources2v13HipEJZN8rajaperf9polybench19POLYBENCH_JACOBI_2D17runHipVariantImplILm256EEEvNSG_9VariantIDEEUlllE2_EEENS0_24HipStatementListExecutorISM_NS3_4listIJNS_9statement3ForILl0ENS_6policy3hip11hip_indexerINS_17iteration_mapping6DirectELNS_23kernel_sync_requirementE0EJNS_3hip11IndexGlobalILNS_9named_dimE1ELi8ELi0EEEEEEJNSQ_ILl1ENST_ISV_LSW_0EJNSY_ILSZ_0ELi32ELi0EEEEEEJNSP_6LambdaILl0EJEEEEEEEEEEEENS0_9LoopTypesINSO_IJvvEEES1A_EEEEEEvT0_,comdat
.Lfunc_end5:
	.size	_ZN4RAJA8internal22HipKernelLauncherFixedILi256ENS0_8LoopDataIN4camp5tupleIJNS_4SpanINS_9Iterators16numeric_iteratorIllPlEElEESA_EEENS4_IJEEENS3_9resources2v13HipEJZN8rajaperf9polybench19POLYBENCH_JACOBI_2D17runHipVariantImplILm256EEEvNSG_9VariantIDEEUlllE2_EEENS0_24HipStatementListExecutorISM_NS3_4listIJNS_9statement3ForILl0ENS_6policy3hip11hip_indexerINS_17iteration_mapping6DirectELNS_23kernel_sync_requirementE0EJNS_3hip11IndexGlobalILNS_9named_dimE1ELi8ELi0EEEEEEJNSQ_ILl1ENST_ISV_LSW_0EJNSY_ILSZ_0ELi32ELi0EEEEEEJNSP_6LambdaILl0EJEEEEEEEEEEEENS0_9LoopTypesINSO_IJvvEEES1A_EEEEEEvT0_, .Lfunc_end5-_ZN4RAJA8internal22HipKernelLauncherFixedILi256ENS0_8LoopDataIN4camp5tupleIJNS_4SpanINS_9Iterators16numeric_iteratorIllPlEElEESA_EEENS4_IJEEENS3_9resources2v13HipEJZN8rajaperf9polybench19POLYBENCH_JACOBI_2D17runHipVariantImplILm256EEEvNSG_9VariantIDEEUlllE2_EEENS0_24HipStatementListExecutorISM_NS3_4listIJNS_9statement3ForILl0ENS_6policy3hip11hip_indexerINS_17iteration_mapping6DirectELNS_23kernel_sync_requirementE0EJNS_3hip11IndexGlobalILNS_9named_dimE1ELi8ELi0EEEEEEJNSQ_ILl1ENST_ISV_LSW_0EJNSY_ILSZ_0ELi32ELi0EEEEEEJNSP_6LambdaILl0EJEEEEEEEEEEEENS0_9LoopTypesINSO_IJvvEEES1A_EEEEEEvT0_
                                        ; -- End function
	.section	.AMDGPU.csdata,"",@progbits
; Kernel info:
; codeLenInByte = 584
; NumSgprs: 18
; NumVgprs: 14
; ScratchSize: 0
; MemoryBound: 0
; FloatMode: 240
; IeeeMode: 1
; LDSByteSize: 0 bytes/workgroup (compile time only)
; SGPRBlocks: 2
; VGPRBlocks: 1
; NumSGPRsForWavesPerEU: 18
; NumVGPRsForWavesPerEU: 14
; Occupancy: 16
; WaveLimiterHint : 0
; COMPUTE_PGM_RSRC2:SCRATCH_EN: 0
; COMPUTE_PGM_RSRC2:USER_SGPR: 14
; COMPUTE_PGM_RSRC2:TRAP_HANDLER: 0
; COMPUTE_PGM_RSRC2:TGID_X_EN: 1
; COMPUTE_PGM_RSRC2:TGID_Y_EN: 1
; COMPUTE_PGM_RSRC2:TGID_Z_EN: 0
; COMPUTE_PGM_RSRC2:TIDIG_COMP_CNT: 1
	.text
	.p2alignl 7, 3214868480
	.fill 96, 4, 3214868480
	.type	__hip_cuid_afb6ff3e13d12868,@object ; @__hip_cuid_afb6ff3e13d12868
	.section	.bss,"aw",@nobits
	.globl	__hip_cuid_afb6ff3e13d12868
__hip_cuid_afb6ff3e13d12868:
	.byte	0                               ; 0x0
	.size	__hip_cuid_afb6ff3e13d12868, 1

	.ident	"AMD clang version 19.0.0git (https://github.com/RadeonOpenCompute/llvm-project roc-6.4.0 25133 c7fe45cf4b819c5991fe208aaa96edf142730f1d)"
	.section	".note.GNU-stack","",@progbits
	.addrsig
	.addrsig_sym __hip_cuid_afb6ff3e13d12868
	.amdgpu_metadata
---
amdhsa.kernels:
  - .args:
      - .address_space:  global
        .offset:         0
        .size:           8
        .value_kind:     global_buffer
      - .address_space:  global
        .offset:         8
        .size:           8
        .value_kind:     global_buffer
      - .offset:         16
        .size:           8
        .value_kind:     by_value
    .group_segment_fixed_size: 0
    .kernarg_segment_align: 8
    .kernarg_segment_size: 24
    .language:       OpenCL C
    .language_version:
      - 2
      - 0
    .max_flat_workgroup_size: 256
    .name:           _ZN8rajaperf9polybench16poly_jacobi_2D_1ILm32ELm8EEEvPdS2_l
    .private_segment_fixed_size: 0
    .sgpr_count:     18
    .sgpr_spill_count: 0
    .symbol:         _ZN8rajaperf9polybench16poly_jacobi_2D_1ILm32ELm8EEEvPdS2_l.kd
    .uniform_work_group_size: 1
    .uses_dynamic_stack: false
    .vgpr_count:     16
    .vgpr_spill_count: 0
    .wavefront_size: 32
    .workgroup_processor_mode: 1
  - .args:
      - .address_space:  global
        .offset:         0
        .size:           8
        .value_kind:     global_buffer
      - .address_space:  global
        .offset:         8
        .size:           8
        .value_kind:     global_buffer
      - .offset:         16
        .size:           8
        .value_kind:     by_value
    .group_segment_fixed_size: 0
    .kernarg_segment_align: 8
    .kernarg_segment_size: 24
    .language:       OpenCL C
    .language_version:
      - 2
      - 0
    .max_flat_workgroup_size: 256
    .name:           _ZN8rajaperf9polybench16poly_jacobi_2D_2ILm32ELm8EEEvPdS2_l
    .private_segment_fixed_size: 0
    .sgpr_count:     18
    .sgpr_spill_count: 0
    .symbol:         _ZN8rajaperf9polybench16poly_jacobi_2D_2ILm32ELm8EEEvPdS2_l.kd
    .uniform_work_group_size: 1
    .uses_dynamic_stack: false
    .vgpr_count:     16
    .vgpr_spill_count: 0
    .wavefront_size: 32
    .workgroup_processor_mode: 1
  - .args:
      - .offset:         0
        .size:           8
        .value_kind:     by_value
      - .offset:         8
        .size:           24
        .value_kind:     by_value
    .group_segment_fixed_size: 0
    .kernarg_segment_align: 8
    .kernarg_segment_size: 32
    .language:       OpenCL C
    .language_version:
      - 2
      - 0
    .max_flat_workgroup_size: 256
    .name:           _ZN8rajaperf9polybench18poly_jacobi_2D_lamILm32ELm8EZNS0_19POLYBENCH_JACOBI_2D17runHipVariantImplILm256EEEvNS_9VariantIDEEUlllE_EEvlT1_
    .private_segment_fixed_size: 0
    .sgpr_count:     18
    .sgpr_spill_count: 0
    .symbol:         _ZN8rajaperf9polybench18poly_jacobi_2D_lamILm32ELm8EZNS0_19POLYBENCH_JACOBI_2D17runHipVariantImplILm256EEEvNS_9VariantIDEEUlllE_EEvlT1_.kd
    .uniform_work_group_size: 1
    .uses_dynamic_stack: false
    .vgpr_count:     16
    .vgpr_spill_count: 0
    .wavefront_size: 32
    .workgroup_processor_mode: 1
  - .args:
      - .offset:         0
        .size:           8
        .value_kind:     by_value
      - .offset:         8
        .size:           24
        .value_kind:     by_value
    .group_segment_fixed_size: 0
    .kernarg_segment_align: 8
    .kernarg_segment_size: 32
    .language:       OpenCL C
    .language_version:
      - 2
      - 0
    .max_flat_workgroup_size: 256
    .name:           _ZN8rajaperf9polybench18poly_jacobi_2D_lamILm32ELm8EZNS0_19POLYBENCH_JACOBI_2D17runHipVariantImplILm256EEEvNS_9VariantIDEEUlllE0_EEvlT1_
    .private_segment_fixed_size: 0
    .sgpr_count:     18
    .sgpr_spill_count: 0
    .symbol:         _ZN8rajaperf9polybench18poly_jacobi_2D_lamILm32ELm8EZNS0_19POLYBENCH_JACOBI_2D17runHipVariantImplILm256EEEvNS_9VariantIDEEUlllE0_EEvlT1_.kd
    .uniform_work_group_size: 1
    .uses_dynamic_stack: false
    .vgpr_count:     16
    .vgpr_spill_count: 0
    .wavefront_size: 32
    .workgroup_processor_mode: 1
  - .args:
      - .offset:         0
        .size:           224
        .value_kind:     by_value
    .group_segment_fixed_size: 0
    .kernarg_segment_align: 8
    .kernarg_segment_size: 224
    .language:       OpenCL C
    .language_version:
      - 2
      - 0
    .max_flat_workgroup_size: 256
    .name:           _ZN4RAJA8internal22HipKernelLauncherFixedILi256ENS0_8LoopDataIN4camp5tupleIJNS_4SpanINS_9Iterators16numeric_iteratorIllPlEElEESA_EEENS4_IJEEENS3_9resources2v13HipEJZN8rajaperf9polybench19POLYBENCH_JACOBI_2D17runHipVariantImplILm256EEEvNSG_9VariantIDEEUlllE1_EEENS0_24HipStatementListExecutorISM_NS3_4listIJNS_9statement3ForILl0ENS_6policy3hip11hip_indexerINS_17iteration_mapping6DirectELNS_23kernel_sync_requirementE0EJNS_3hip11IndexGlobalILNS_9named_dimE1ELi8ELi0EEEEEEJNSQ_ILl1ENST_ISV_LSW_0EJNSY_ILSZ_0ELi32ELi0EEEEEEJNSP_6LambdaILl0EJEEEEEEEEEEEENS0_9LoopTypesINSO_IJvvEEES1A_EEEEEEvT0_
    .private_segment_fixed_size: 0
    .sgpr_count:     18
    .sgpr_spill_count: 0
    .symbol:         _ZN4RAJA8internal22HipKernelLauncherFixedILi256ENS0_8LoopDataIN4camp5tupleIJNS_4SpanINS_9Iterators16numeric_iteratorIllPlEElEESA_EEENS4_IJEEENS3_9resources2v13HipEJZN8rajaperf9polybench19POLYBENCH_JACOBI_2D17runHipVariantImplILm256EEEvNSG_9VariantIDEEUlllE1_EEENS0_24HipStatementListExecutorISM_NS3_4listIJNS_9statement3ForILl0ENS_6policy3hip11hip_indexerINS_17iteration_mapping6DirectELNS_23kernel_sync_requirementE0EJNS_3hip11IndexGlobalILNS_9named_dimE1ELi8ELi0EEEEEEJNSQ_ILl1ENST_ISV_LSW_0EJNSY_ILSZ_0ELi32ELi0EEEEEEJNSP_6LambdaILl0EJEEEEEEEEEEEENS0_9LoopTypesINSO_IJvvEEES1A_EEEEEEvT0_.kd
    .uniform_work_group_size: 1
    .uses_dynamic_stack: false
    .vgpr_count:     14
    .vgpr_spill_count: 0
    .wavefront_size: 32
    .workgroup_processor_mode: 1
  - .args:
      - .offset:         0
        .size:           224
        .value_kind:     by_value
    .group_segment_fixed_size: 0
    .kernarg_segment_align: 8
    .kernarg_segment_size: 224
    .language:       OpenCL C
    .language_version:
      - 2
      - 0
    .max_flat_workgroup_size: 256
    .name:           _ZN4RAJA8internal22HipKernelLauncherFixedILi256ENS0_8LoopDataIN4camp5tupleIJNS_4SpanINS_9Iterators16numeric_iteratorIllPlEElEESA_EEENS4_IJEEENS3_9resources2v13HipEJZN8rajaperf9polybench19POLYBENCH_JACOBI_2D17runHipVariantImplILm256EEEvNSG_9VariantIDEEUlllE2_EEENS0_24HipStatementListExecutorISM_NS3_4listIJNS_9statement3ForILl0ENS_6policy3hip11hip_indexerINS_17iteration_mapping6DirectELNS_23kernel_sync_requirementE0EJNS_3hip11IndexGlobalILNS_9named_dimE1ELi8ELi0EEEEEEJNSQ_ILl1ENST_ISV_LSW_0EJNSY_ILSZ_0ELi32ELi0EEEEEEJNSP_6LambdaILl0EJEEEEEEEEEEEENS0_9LoopTypesINSO_IJvvEEES1A_EEEEEEvT0_
    .private_segment_fixed_size: 0
    .sgpr_count:     18
    .sgpr_spill_count: 0
    .symbol:         _ZN4RAJA8internal22HipKernelLauncherFixedILi256ENS0_8LoopDataIN4camp5tupleIJNS_4SpanINS_9Iterators16numeric_iteratorIllPlEElEESA_EEENS4_IJEEENS3_9resources2v13HipEJZN8rajaperf9polybench19POLYBENCH_JACOBI_2D17runHipVariantImplILm256EEEvNSG_9VariantIDEEUlllE2_EEENS0_24HipStatementListExecutorISM_NS3_4listIJNS_9statement3ForILl0ENS_6policy3hip11hip_indexerINS_17iteration_mapping6DirectELNS_23kernel_sync_requirementE0EJNS_3hip11IndexGlobalILNS_9named_dimE1ELi8ELi0EEEEEEJNSQ_ILl1ENST_ISV_LSW_0EJNSY_ILSZ_0ELi32ELi0EEEEEEJNSP_6LambdaILl0EJEEEEEEEEEEEENS0_9LoopTypesINSO_IJvvEEES1A_EEEEEEvT0_.kd
    .uniform_work_group_size: 1
    .uses_dynamic_stack: false
    .vgpr_count:     14
    .vgpr_spill_count: 0
    .wavefront_size: 32
    .workgroup_processor_mode: 1
amdhsa.target:   amdgcn-amd-amdhsa--gfx1100
amdhsa.version:
  - 1
  - 2
...

	.end_amdgpu_metadata
